;; amdgpu-corpus repo=ROCm/rocFFT kind=compiled arch=gfx1030 opt=O3
	.text
	.amdgcn_target "amdgcn-amd-amdhsa--gfx1030"
	.amdhsa_code_object_version 6
	.protected	fft_rtc_fwd_len1734_factors_17_17_6_wgs_102_tpt_102_halfLds_half_op_CI_CI_unitstride_sbrr_C2R_dirReg ; -- Begin function fft_rtc_fwd_len1734_factors_17_17_6_wgs_102_tpt_102_halfLds_half_op_CI_CI_unitstride_sbrr_C2R_dirReg
	.globl	fft_rtc_fwd_len1734_factors_17_17_6_wgs_102_tpt_102_halfLds_half_op_CI_CI_unitstride_sbrr_C2R_dirReg
	.p2align	8
	.type	fft_rtc_fwd_len1734_factors_17_17_6_wgs_102_tpt_102_halfLds_half_op_CI_CI_unitstride_sbrr_C2R_dirReg,@function
fft_rtc_fwd_len1734_factors_17_17_6_wgs_102_tpt_102_halfLds_half_op_CI_CI_unitstride_sbrr_C2R_dirReg: ; @fft_rtc_fwd_len1734_factors_17_17_6_wgs_102_tpt_102_halfLds_half_op_CI_CI_unitstride_sbrr_C2R_dirReg
; %bb.0:
	s_clause 0x2
	s_load_dwordx4 s[12:15], s[4:5], 0x0
	s_load_dwordx4 s[8:11], s[4:5], 0x58
	;; [unrolled: 1-line block ×3, first 2 shown]
	v_mul_u32_u24_e32 v1, 0x283, v0
	v_mov_b32_e32 v3, 0
	v_mov_b32_e32 v7, 0
	;; [unrolled: 1-line block ×3, first 2 shown]
	v_add_nc_u32_sdwa v9, s6, v1 dst_sel:DWORD dst_unused:UNUSED_PAD src0_sel:DWORD src1_sel:WORD_1
	v_mov_b32_e32 v10, v3
	s_waitcnt lgkmcnt(0)
	v_cmp_lt_u64_e64 s0, s[14:15], 2
	s_and_b32 vcc_lo, exec_lo, s0
	s_cbranch_vccnz .LBB0_8
; %bb.1:
	s_load_dwordx2 s[0:1], s[4:5], 0x10
	v_mov_b32_e32 v7, 0
	v_mov_b32_e32 v8, 0
	s_add_u32 s2, s18, 8
	s_addc_u32 s3, s19, 0
	v_mov_b32_e32 v1, v7
	s_add_u32 s6, s16, 8
	v_mov_b32_e32 v2, v8
	s_addc_u32 s7, s17, 0
	s_mov_b64 s[22:23], 1
	s_waitcnt lgkmcnt(0)
	s_add_u32 s20, s0, 8
	s_addc_u32 s21, s1, 0
.LBB0_2:                                ; =>This Inner Loop Header: Depth=1
	s_load_dwordx2 s[24:25], s[20:21], 0x0
                                        ; implicit-def: $vgpr5_vgpr6
	s_mov_b32 s0, exec_lo
	s_waitcnt lgkmcnt(0)
	v_or_b32_e32 v4, s25, v10
	v_cmpx_ne_u64_e32 0, v[3:4]
	s_xor_b32 s1, exec_lo, s0
	s_cbranch_execz .LBB0_4
; %bb.3:                                ;   in Loop: Header=BB0_2 Depth=1
	v_cvt_f32_u32_e32 v4, s24
	v_cvt_f32_u32_e32 v5, s25
	s_sub_u32 s0, 0, s24
	s_subb_u32 s26, 0, s25
	v_fmac_f32_e32 v4, 0x4f800000, v5
	v_rcp_f32_e32 v4, v4
	v_mul_f32_e32 v4, 0x5f7ffffc, v4
	v_mul_f32_e32 v5, 0x2f800000, v4
	v_trunc_f32_e32 v5, v5
	v_fmac_f32_e32 v4, 0xcf800000, v5
	v_cvt_u32_f32_e32 v5, v5
	v_cvt_u32_f32_e32 v4, v4
	v_mul_lo_u32 v6, s0, v5
	v_mul_hi_u32 v11, s0, v4
	v_mul_lo_u32 v12, s26, v4
	v_add_nc_u32_e32 v6, v11, v6
	v_mul_lo_u32 v11, s0, v4
	v_add_nc_u32_e32 v6, v6, v12
	v_mul_hi_u32 v12, v4, v11
	v_mul_lo_u32 v13, v4, v6
	v_mul_hi_u32 v14, v4, v6
	v_mul_hi_u32 v15, v5, v11
	v_mul_lo_u32 v11, v5, v11
	v_mul_hi_u32 v16, v5, v6
	v_mul_lo_u32 v6, v5, v6
	v_add_co_u32 v12, vcc_lo, v12, v13
	v_add_co_ci_u32_e32 v13, vcc_lo, 0, v14, vcc_lo
	v_add_co_u32 v11, vcc_lo, v12, v11
	v_add_co_ci_u32_e32 v11, vcc_lo, v13, v15, vcc_lo
	v_add_co_ci_u32_e32 v12, vcc_lo, 0, v16, vcc_lo
	v_add_co_u32 v6, vcc_lo, v11, v6
	v_add_co_ci_u32_e32 v11, vcc_lo, 0, v12, vcc_lo
	v_add_co_u32 v4, vcc_lo, v4, v6
	v_add_co_ci_u32_e32 v5, vcc_lo, v5, v11, vcc_lo
	v_mul_hi_u32 v6, s0, v4
	v_mul_lo_u32 v12, s26, v4
	v_mul_lo_u32 v11, s0, v5
	v_add_nc_u32_e32 v6, v6, v11
	v_mul_lo_u32 v11, s0, v4
	v_add_nc_u32_e32 v6, v6, v12
	v_mul_hi_u32 v12, v4, v11
	v_mul_lo_u32 v13, v4, v6
	v_mul_hi_u32 v14, v4, v6
	v_mul_hi_u32 v15, v5, v11
	v_mul_lo_u32 v11, v5, v11
	v_mul_hi_u32 v16, v5, v6
	v_mul_lo_u32 v6, v5, v6
	v_add_co_u32 v12, vcc_lo, v12, v13
	v_add_co_ci_u32_e32 v13, vcc_lo, 0, v14, vcc_lo
	v_add_co_u32 v11, vcc_lo, v12, v11
	v_add_co_ci_u32_e32 v11, vcc_lo, v13, v15, vcc_lo
	v_add_co_ci_u32_e32 v12, vcc_lo, 0, v16, vcc_lo
	v_add_co_u32 v6, vcc_lo, v11, v6
	v_add_co_ci_u32_e32 v11, vcc_lo, 0, v12, vcc_lo
	v_add_co_u32 v6, vcc_lo, v4, v6
	v_add_co_ci_u32_e32 v13, vcc_lo, v5, v11, vcc_lo
	v_mul_hi_u32 v15, v9, v6
	v_mad_u64_u32 v[11:12], null, v10, v6, 0
	v_mad_u64_u32 v[4:5], null, v9, v13, 0
	;; [unrolled: 1-line block ×3, first 2 shown]
	v_add_co_u32 v4, vcc_lo, v15, v4
	v_add_co_ci_u32_e32 v5, vcc_lo, 0, v5, vcc_lo
	v_add_co_u32 v4, vcc_lo, v4, v11
	v_add_co_ci_u32_e32 v4, vcc_lo, v5, v12, vcc_lo
	v_add_co_ci_u32_e32 v5, vcc_lo, 0, v14, vcc_lo
	v_add_co_u32 v11, vcc_lo, v4, v13
	v_add_co_ci_u32_e32 v6, vcc_lo, 0, v5, vcc_lo
	v_mul_lo_u32 v12, s25, v11
	v_mad_u64_u32 v[4:5], null, s24, v11, 0
	v_mul_lo_u32 v13, s24, v6
	v_sub_co_u32 v4, vcc_lo, v9, v4
	v_add3_u32 v5, v5, v13, v12
	v_sub_nc_u32_e32 v12, v10, v5
	v_subrev_co_ci_u32_e64 v12, s0, s25, v12, vcc_lo
	v_add_co_u32 v13, s0, v11, 2
	v_add_co_ci_u32_e64 v14, s0, 0, v6, s0
	v_sub_co_u32 v15, s0, v4, s24
	v_sub_co_ci_u32_e32 v5, vcc_lo, v10, v5, vcc_lo
	v_subrev_co_ci_u32_e64 v12, s0, 0, v12, s0
	v_cmp_le_u32_e32 vcc_lo, s24, v15
	v_cmp_eq_u32_e64 s0, s25, v5
	v_cndmask_b32_e64 v15, 0, -1, vcc_lo
	v_cmp_le_u32_e32 vcc_lo, s25, v12
	v_cndmask_b32_e64 v16, 0, -1, vcc_lo
	v_cmp_le_u32_e32 vcc_lo, s24, v4
	;; [unrolled: 2-line block ×3, first 2 shown]
	v_cndmask_b32_e64 v17, 0, -1, vcc_lo
	v_cmp_eq_u32_e32 vcc_lo, s25, v12
	v_cndmask_b32_e64 v4, v17, v4, s0
	v_cndmask_b32_e32 v12, v16, v15, vcc_lo
	v_add_co_u32 v15, vcc_lo, v11, 1
	v_add_co_ci_u32_e32 v16, vcc_lo, 0, v6, vcc_lo
	v_cmp_ne_u32_e32 vcc_lo, 0, v12
	v_cndmask_b32_e32 v5, v16, v14, vcc_lo
	v_cndmask_b32_e32 v12, v15, v13, vcc_lo
	v_cmp_ne_u32_e32 vcc_lo, 0, v4
	v_cndmask_b32_e32 v6, v6, v5, vcc_lo
	v_cndmask_b32_e32 v5, v11, v12, vcc_lo
.LBB0_4:                                ;   in Loop: Header=BB0_2 Depth=1
	s_andn2_saveexec_b32 s0, s1
	s_cbranch_execz .LBB0_6
; %bb.5:                                ;   in Loop: Header=BB0_2 Depth=1
	v_cvt_f32_u32_e32 v4, s24
	s_sub_i32 s1, 0, s24
	v_rcp_iflag_f32_e32 v4, v4
	v_mul_f32_e32 v4, 0x4f7ffffe, v4
	v_cvt_u32_f32_e32 v4, v4
	v_mul_lo_u32 v5, s1, v4
	v_mul_hi_u32 v5, v4, v5
	v_add_nc_u32_e32 v4, v4, v5
	v_mul_hi_u32 v4, v9, v4
	v_mul_lo_u32 v5, v4, s24
	v_add_nc_u32_e32 v6, 1, v4
	v_sub_nc_u32_e32 v5, v9, v5
	v_subrev_nc_u32_e32 v11, s24, v5
	v_cmp_le_u32_e32 vcc_lo, s24, v5
	v_cndmask_b32_e32 v5, v5, v11, vcc_lo
	v_cndmask_b32_e32 v4, v4, v6, vcc_lo
	v_cmp_le_u32_e32 vcc_lo, s24, v5
	v_add_nc_u32_e32 v6, 1, v4
	v_cndmask_b32_e32 v5, v4, v6, vcc_lo
	v_mov_b32_e32 v6, v3
.LBB0_6:                                ;   in Loop: Header=BB0_2 Depth=1
	s_or_b32 exec_lo, exec_lo, s0
	v_mul_lo_u32 v4, v6, s24
	v_mul_lo_u32 v13, v5, s25
	s_load_dwordx2 s[0:1], s[6:7], 0x0
	v_mad_u64_u32 v[11:12], null, v5, s24, 0
	s_load_dwordx2 s[24:25], s[2:3], 0x0
	s_add_u32 s22, s22, 1
	s_addc_u32 s23, s23, 0
	s_add_u32 s2, s2, 8
	s_addc_u32 s3, s3, 0
	s_add_u32 s6, s6, 8
	v_add3_u32 v4, v12, v13, v4
	v_sub_co_u32 v9, vcc_lo, v9, v11
	s_addc_u32 s7, s7, 0
	s_add_u32 s20, s20, 8
	v_sub_co_ci_u32_e32 v4, vcc_lo, v10, v4, vcc_lo
	s_addc_u32 s21, s21, 0
	s_waitcnt lgkmcnt(0)
	v_mul_lo_u32 v10, s0, v4
	v_mul_lo_u32 v11, s1, v9
	v_mad_u64_u32 v[7:8], null, s0, v9, v[7:8]
	v_mul_lo_u32 v4, s24, v4
	v_mul_lo_u32 v12, s25, v9
	v_mad_u64_u32 v[1:2], null, s24, v9, v[1:2]
	v_cmp_ge_u64_e64 s0, s[22:23], s[14:15]
	v_add3_u32 v8, v11, v8, v10
	v_add3_u32 v2, v12, v2, v4
	s_and_b32 vcc_lo, exec_lo, s0
	s_cbranch_vccnz .LBB0_9
; %bb.7:                                ;   in Loop: Header=BB0_2 Depth=1
	v_mov_b32_e32 v10, v6
	v_mov_b32_e32 v9, v5
	s_branch .LBB0_2
.LBB0_8:
	v_mov_b32_e32 v1, v7
	v_mov_b32_e32 v5, v9
	;; [unrolled: 1-line block ×4, first 2 shown]
.LBB0_9:
	s_load_dwordx2 s[0:1], s[4:5], 0x28
	v_mul_hi_u32 v4, 0x2828283, v0
	s_lshl_b64 s[4:5], s[14:15], 3
                                        ; implicit-def: $vgpr3
	s_add_u32 s2, s18, s4
	s_addc_u32 s3, s19, s5
	s_waitcnt lgkmcnt(0)
	v_cmp_gt_u64_e32 vcc_lo, s[0:1], v[5:6]
	v_cmp_le_u64_e64 s0, s[0:1], v[5:6]
	s_and_saveexec_b32 s1, s0
	s_xor_b32 s0, exec_lo, s1
; %bb.10:
	v_mul_u32_u24_e32 v3, 0x66, v4
                                        ; implicit-def: $vgpr4
                                        ; implicit-def: $vgpr7_vgpr8
	v_sub_nc_u32_e32 v3, v0, v3
                                        ; implicit-def: $vgpr0
; %bb.11:
	s_or_saveexec_b32 s1, s0
	s_load_dwordx2 s[2:3], s[2:3], 0x0
	s_xor_b32 exec_lo, exec_lo, s1
	s_cbranch_execz .LBB0_15
; %bb.12:
	s_add_u32 s4, s16, s4
	s_addc_u32 s5, s17, s5
	v_lshlrev_b64 v[7:8], 2, v[7:8]
	s_load_dwordx2 s[4:5], s[4:5], 0x0
	s_waitcnt lgkmcnt(0)
	v_mul_lo_u32 v3, s5, v5
	v_mul_lo_u32 v11, s4, v6
	v_mad_u64_u32 v[9:10], null, s4, v5, 0
	s_mov_b32 s4, exec_lo
	v_add3_u32 v10, v10, v11, v3
	v_mul_u32_u24_e32 v3, 0x66, v4
	v_lshlrev_b64 v[9:10], 2, v[9:10]
	v_sub_nc_u32_e32 v3, v0, v3
	v_lshlrev_b32_e32 v15, 2, v3
	v_add_co_u32 v0, s0, s8, v9
	v_add_co_ci_u32_e64 v4, s0, s9, v10, s0
	v_add_co_u32 v0, s0, v0, v7
	v_add_co_ci_u32_e64 v4, s0, v4, v8, s0
	;; [unrolled: 2-line block ×6, first 2 shown]
	s_clause 0x10
	global_load_dword v16, v[7:8], off
	global_load_dword v17, v[7:8], off offset:408
	global_load_dword v18, v[7:8], off offset:816
	;; [unrolled: 1-line block ×16, first 2 shown]
	v_add_nc_u32_e32 v13, 0, v15
	v_add_nc_u32_e32 v14, 0x200, v13
	;; [unrolled: 1-line block ×8, first 2 shown]
	s_waitcnt vmcnt(15)
	ds_write2_b32 v13, v16, v17 offset1:102
	s_waitcnt vmcnt(13)
	ds_write2_b32 v14, v18, v19 offset0:76 offset1:178
	s_waitcnt vmcnt(11)
	ds_write2_b32 v15, v20, v7 offset0:152 offset1:254
	;; [unrolled: 2-line block ×7, first 2 shown]
	s_waitcnt vmcnt(0)
	ds_write_b32 v13, v12 offset:6528
	v_cmpx_eq_u32_e32 0x65, v3
	s_cbranch_execz .LBB0_14
; %bb.13:
	v_add_co_u32 v3, s0, 0x1800, v0
	v_add_co_ci_u32_e64 v4, s0, 0, v4, s0
	global_load_dword v0, v[3:4], off offset:792
	v_mov_b32_e32 v4, 0
	v_mov_b32_e32 v3, 0x65
	s_waitcnt vmcnt(0)
	ds_write_b32 v4, v0 offset:6936
.LBB0_14:
	s_or_b32 exec_lo, exec_lo, s4
.LBB0_15:
	s_or_b32 exec_lo, exec_lo, s1
	v_lshlrev_b32_e32 v4, 2, v3
	s_waitcnt lgkmcnt(0)
	s_barrier
	buffer_gl0_inv
	s_add_u32 s1, s12, 0x1ad4
	v_add_nc_u32_e32 v0, 0, v4
	v_sub_nc_u32_e32 v9, 0, v4
	s_addc_u32 s4, s13, 0
	s_mov_b32 s5, exec_lo
                                        ; implicit-def: $vgpr7_vgpr8
	ds_read_u16 v12, v0
	ds_read_u16 v13, v9 offset:6936
	s_waitcnt lgkmcnt(0)
	v_add_f16_e32 v11, v13, v12
	v_sub_f16_e32 v10, v12, v13
	v_cmpx_ne_u32_e32 0, v3
	s_xor_b32 s5, exec_lo, s5
	s_cbranch_execz .LBB0_17
; %bb.16:
	v_mov_b32_e32 v4, 0
	v_add_f16_e32 v11, v13, v12
	v_sub_f16_e32 v12, v12, v13
	v_lshlrev_b64 v[7:8], 2, v[3:4]
	v_add_co_u32 v7, s0, s1, v7
	v_add_co_ci_u32_e64 v8, s0, s4, v8, s0
	global_load_dword v7, v[7:8], off
	ds_read_u16 v8, v9 offset:6938
	ds_read_u16 v10, v0 offset:2
	s_waitcnt lgkmcnt(0)
	v_add_f16_e32 v13, v8, v10
	v_sub_f16_e32 v8, v10, v8
	s_waitcnt vmcnt(0)
	v_lshrrev_b32_e32 v14, 16, v7
	v_fma_f16 v15, -v12, v14, v11
	v_fma_f16 v16, v13, v14, -v8
	v_fma_f16 v10, v13, v14, v8
	v_fma_f16 v11, v12, v14, v11
	v_fmac_f16_e32 v15, v7, v13
	v_fmac_f16_e32 v16, v12, v7
	;; [unrolled: 1-line block ×3, first 2 shown]
	v_fma_f16 v11, -v7, v13, v11
	v_mov_b32_e32 v8, v4
	v_mov_b32_e32 v7, v3
	v_pack_b32_f16 v12, v15, v16
	ds_write_b32 v9, v12 offset:6936
.LBB0_17:
	s_andn2_saveexec_b32 s0, s5
	s_cbranch_execz .LBB0_19
; %bb.18:
	v_mov_b32_e32 v4, 0
	ds_read_b32 v7, v4 offset:3468
	s_waitcnt lgkmcnt(0)
	v_pk_mul_f16 v12, 0xc0004000, v7
	v_mov_b32_e32 v7, 0
	v_mov_b32_e32 v8, 0
	ds_write_b32 v4, v12 offset:3468
.LBB0_19:
	s_or_b32 exec_lo, exec_lo, s0
	v_lshlrev_b64 v[7:8], 2, v[7:8]
	v_perm_b32 v10, v10, v11, 0x5040100
	v_add_co_u32 v7, s0, s1, v7
	v_add_co_ci_u32_e64 v8, s0, s4, v8, s0
	s_mov_b32 s1, exec_lo
	s_clause 0x4
	global_load_dword v4, v[7:8], off offset:408
	global_load_dword v12, v[7:8], off offset:816
	;; [unrolled: 1-line block ×5, first 2 shown]
	v_add_co_u32 v7, s0, 0x800, v7
	v_add_co_ci_u32_e64 v8, s0, 0, v8, s0
	s_clause 0x1
	global_load_dword v16, v[7:8], off offset:400
	global_load_dword v17, v[7:8], off offset:808
	ds_write_b32 v0, v10
	ds_read_b32 v10, v0 offset:408
	ds_read_b32 v11, v9 offset:6528
	s_waitcnt lgkmcnt(0)
	v_add_f16_e32 v18, v10, v11
	v_add_f16_sdwa v19, v11, v10 dst_sel:DWORD dst_unused:UNUSED_PAD src0_sel:WORD_1 src1_sel:WORD_1
	v_sub_f16_e32 v20, v10, v11
	v_sub_f16_sdwa v10, v10, v11 dst_sel:DWORD dst_unused:UNUSED_PAD src0_sel:WORD_1 src1_sel:WORD_1
	s_waitcnt vmcnt(6)
	v_lshrrev_b32_e32 v21, 16, v4
	v_fma_f16 v11, v20, v21, v18
	v_fma_f16 v22, v19, v21, v10
	v_fma_f16 v18, -v20, v21, v18
	v_fma_f16 v10, v19, v21, -v10
	v_fma_f16 v11, -v4, v19, v11
	v_fmac_f16_e32 v22, v20, v4
	v_fmac_f16_e32 v18, v4, v19
	;; [unrolled: 1-line block ×3, first 2 shown]
	v_pack_b32_f16 v4, v11, v22
	s_waitcnt vmcnt(5)
	v_lshrrev_b32_e32 v11, 16, v12
	v_pack_b32_f16 v10, v18, v10
	ds_write_b32 v0, v4 offset:408
	ds_write_b32 v9, v10 offset:6528
	ds_read_b32 v4, v0 offset:816
	ds_read_b32 v10, v9 offset:6120
	s_waitcnt lgkmcnt(0)
	v_add_f16_e32 v18, v4, v10
	v_add_f16_sdwa v19, v10, v4 dst_sel:DWORD dst_unused:UNUSED_PAD src0_sel:WORD_1 src1_sel:WORD_1
	v_sub_f16_e32 v20, v4, v10
	v_sub_f16_sdwa v4, v4, v10 dst_sel:DWORD dst_unused:UNUSED_PAD src0_sel:WORD_1 src1_sel:WORD_1
	v_fma_f16 v10, v20, v11, v18
	v_fma_f16 v21, v19, v11, v4
	v_fma_f16 v18, -v20, v11, v18
	v_fma_f16 v4, v19, v11, -v4
	s_waitcnt vmcnt(4)
	v_lshrrev_b32_e32 v11, 16, v13
	v_fma_f16 v10, -v12, v19, v10
	v_fmac_f16_e32 v21, v20, v12
	v_fmac_f16_e32 v18, v12, v19
	v_fmac_f16_e32 v4, v20, v12
	v_pack_b32_f16 v10, v10, v21
	v_pack_b32_f16 v4, v18, v4
	ds_write_b32 v0, v10 offset:816
	ds_write_b32 v9, v4 offset:6120
	ds_read_b32 v4, v0 offset:1224
	ds_read_b32 v10, v9 offset:5712
	s_waitcnt lgkmcnt(0)
	v_add_f16_e32 v12, v4, v10
	v_add_f16_sdwa v18, v10, v4 dst_sel:DWORD dst_unused:UNUSED_PAD src0_sel:WORD_1 src1_sel:WORD_1
	v_sub_f16_e32 v19, v4, v10
	v_sub_f16_sdwa v4, v4, v10 dst_sel:DWORD dst_unused:UNUSED_PAD src0_sel:WORD_1 src1_sel:WORD_1
	v_fma_f16 v10, v19, v11, v12
	v_fma_f16 v20, v18, v11, v4
	v_fma_f16 v12, -v19, v11, v12
	v_fma_f16 v4, v18, v11, -v4
	s_waitcnt vmcnt(3)
	v_lshrrev_b32_e32 v11, 16, v14
	v_fma_f16 v10, -v13, v18, v10
	v_fmac_f16_e32 v20, v19, v13
	v_fmac_f16_e32 v12, v13, v18
	v_fmac_f16_e32 v4, v19, v13
	v_pack_b32_f16 v10, v10, v20
	;; [unrolled: 21-line block ×5, first 2 shown]
	v_pack_b32_f16 v4, v12, v4
	ds_write_b32 v0, v10 offset:2448
	ds_write_b32 v9, v4 offset:4488
	ds_read_b32 v4, v0 offset:2856
	ds_read_b32 v10, v9 offset:4080
	s_waitcnt lgkmcnt(0)
	v_add_f16_e32 v12, v4, v10
	v_add_f16_sdwa v13, v10, v4 dst_sel:DWORD dst_unused:UNUSED_PAD src0_sel:WORD_1 src1_sel:WORD_1
	v_sub_f16_e32 v14, v4, v10
	v_sub_f16_sdwa v4, v4, v10 dst_sel:DWORD dst_unused:UNUSED_PAD src0_sel:WORD_1 src1_sel:WORD_1
	v_fma_f16 v10, v14, v11, v12
	v_fma_f16 v15, v13, v11, v4
	v_fma_f16 v12, -v14, v11, v12
	v_fma_f16 v4, v13, v11, -v4
	v_fma_f16 v10, -v17, v13, v10
	v_fmac_f16_e32 v15, v14, v17
	v_fmac_f16_e32 v12, v17, v13
	;; [unrolled: 1-line block ×3, first 2 shown]
	v_pack_b32_f16 v10, v10, v15
	v_pack_b32_f16 v4, v12, v4
	ds_write_b32 v0, v10 offset:2856
	ds_write_b32 v9, v4 offset:4080
	v_cmpx_gt_u32_e32 51, v3
	s_cbranch_execz .LBB0_21
; %bb.20:
	global_load_dword v4, v[7:8], off offset:1216
	ds_read_b32 v7, v0 offset:3264
	ds_read_b32 v8, v9 offset:3672
	s_waitcnt lgkmcnt(0)
	v_add_f16_e32 v10, v7, v8
	v_add_f16_sdwa v11, v8, v7 dst_sel:DWORD dst_unused:UNUSED_PAD src0_sel:WORD_1 src1_sel:WORD_1
	v_sub_f16_e32 v12, v7, v8
	v_sub_f16_sdwa v7, v7, v8 dst_sel:DWORD dst_unused:UNUSED_PAD src0_sel:WORD_1 src1_sel:WORD_1
	s_waitcnt vmcnt(0)
	v_lshrrev_b32_e32 v13, 16, v4
	v_fma_f16 v8, v12, v13, v10
	v_fma_f16 v14, v11, v13, v7
	v_fma_f16 v10, -v12, v13, v10
	v_fma_f16 v7, v11, v13, -v7
	v_fma_f16 v8, -v4, v11, v8
	v_fmac_f16_e32 v14, v12, v4
	v_fmac_f16_e32 v10, v4, v11
	;; [unrolled: 1-line block ×3, first 2 shown]
	v_pack_b32_f16 v4, v8, v14
	v_pack_b32_f16 v7, v10, v7
	ds_write_b32 v0, v4 offset:3264
	ds_write_b32 v9, v7 offset:3672
.LBB0_21:
	s_or_b32 exec_lo, exec_lo, s1
	s_waitcnt lgkmcnt(0)
	s_barrier
	buffer_gl0_inv
	s_barrier
	buffer_gl0_inv
	ds_read2_b32 v[13:14], v0 offset1:102
	v_add_nc_u32_e32 v19, 0x200, v0
	ds_read2_b32 v[25:26], v19 offset0:76 offset1:178
	ds_read_b32 v30, v0 offset:6528
	v_add_nc_u32_e32 v4, 0x400, v0
	v_add_nc_u32_e32 v20, 0x800, v0
	;; [unrolled: 1-line block ×5, first 2 shown]
	ds_read2_b32 v[35:36], v4 offset0:152 offset1:254
	ds_read2_b32 v[9:10], v20 offset0:100 offset1:202
	;; [unrolled: 1-line block ×3, first 2 shown]
	v_add_nc_u32_e32 v24, 0x1400, v0
	ds_read2_b32 v[11:12], v22 offset0:124 offset1:226
	ds_read2_b32 v[17:18], v23 offset0:72 offset1:174
	;; [unrolled: 1-line block ×3, first 2 shown]
	s_waitcnt lgkmcnt(0)
	s_barrier
	v_add_f16_e32 v27, v13, v14
	v_add_f16_sdwa v28, v13, v14 dst_sel:DWORD dst_unused:UNUSED_PAD src0_sel:WORD_1 src1_sel:WORD_1
	buffer_gl0_inv
	v_cmp_gt_u32_e64 s0, 0x55, v3
	v_add_f16_e32 v27, v27, v25
	v_add_f16_sdwa v28, v28, v25 dst_sel:DWORD dst_unused:UNUSED_PAD src0_sel:DWORD src1_sel:WORD_1
	v_add_f16_e32 v42, v30, v14
	v_sub_f16_sdwa v29, v14, v30 dst_sel:DWORD dst_unused:UNUSED_PAD src0_sel:WORD_1 src1_sel:WORD_1
	v_sub_f16_e32 v41, v14, v30
	v_add_f16_e32 v27, v27, v26
	v_add_f16_sdwa v28, v28, v26 dst_sel:DWORD dst_unused:UNUSED_PAD src0_sel:DWORD src1_sel:WORD_1
	v_add_f16_sdwa v43, v30, v14 dst_sel:DWORD dst_unused:UNUSED_PAD src0_sel:WORD_1 src1_sel:WORD_1
	v_mul_f16_e32 v44, 0xb5c8, v29
	v_mul_f16_e32 v46, 0xb964, v29
	v_add_f16_e32 v14, v27, v35
	v_add_f16_sdwa v27, v28, v35 dst_sel:DWORD dst_unused:UNUSED_PAD src0_sel:DWORD src1_sel:WORD_1
	v_add_f16_e32 v38, v16, v25
	v_add_f16_sdwa v37, v16, v25 dst_sel:DWORD dst_unused:UNUSED_PAD src0_sel:WORD_1 src1_sel:WORD_1
	v_sub_f16_e32 v39, v25, v16
	v_add_f16_e32 v14, v14, v36
	v_add_f16_sdwa v27, v27, v36 dst_sel:DWORD dst_unused:UNUSED_PAD src0_sel:DWORD src1_sel:WORD_1
	v_sub_f16_sdwa v40, v25, v16 dst_sel:DWORD dst_unused:UNUSED_PAD src0_sel:WORD_1 src1_sel:WORD_1
	v_mul_f16_e32 v48, 0xbb29, v29
	v_mul_f16_e32 v50, 0xbbf7, v29
	;; [unrolled: 1-line block ×3, first 2 shown]
	v_pack_b32_f16 v14, v14, v27
	v_mul_f16_e32 v52, 0xba62, v29
	v_mul_f16_e32 v53, 0xb836, v29
	;; [unrolled: 1-line block ×3, first 2 shown]
	v_add_f16_sdwa v27, v15, v26 dst_sel:DWORD dst_unused:UNUSED_PAD src0_sel:WORD_1 src1_sel:WORD_1
	v_pk_add_f16 v28, v14, v9
	v_add_f16_e32 v14, v15, v26
	v_sub_f16_sdwa v29, v26, v15 dst_sel:DWORD dst_unused:UNUSED_PAD src0_sel:WORD_1 src1_sel:WORD_1
	v_add_f16_e32 v31, v18, v35
	v_add_f16_sdwa v32, v18, v35 dst_sel:DWORD dst_unused:UNUSED_PAD src0_sel:WORD_1 src1_sel:WORD_1
	v_pk_add_f16 v25, v28, v10
	v_sub_f16_e32 v28, v26, v15
	v_sub_f16_e32 v33, v35, v18
	v_sub_f16_sdwa v34, v35, v18 dst_sel:DWORD dst_unused:UNUSED_PAD src0_sel:WORD_1 src1_sel:WORD_1
	v_add_f16_sdwa v26, v17, v36 dst_sel:DWORD dst_unused:UNUSED_PAD src0_sel:WORD_1 src1_sel:WORD_1
	v_pk_add_f16 v55, v25, v7
	v_add_f16_e32 v25, v17, v36
	v_sub_f16_e32 v35, v36, v17
	v_sub_f16_sdwa v36, v36, v17 dst_sel:DWORD dst_unused:UNUSED_PAD src0_sel:WORD_1 src1_sel:WORD_1
	v_mul_f16_e32 v45, 0xb5c8, v41
	v_pk_add_f16 v55, v55, v8
	v_mul_f16_e32 v47, 0xb964, v41
	v_mul_f16_e32 v56, 0xbbf7, v41
	;; [unrolled: 1-line block ×4, first 2 shown]
	v_pk_add_f16 v55, v55, v11
	v_mul_f16_e32 v49, 0xbb29, v41
	v_fma_f16 v57, v42, 0x3b76, -v44
	v_fmamk_f16 v58, v43, 0x3b76, v45
	v_fma_f16 v59, v42, 0x39e9, -v46
	v_pk_add_f16 v55, v55, v12
	v_fmamk_f16 v60, v43, 0x39e9, v47
	v_fma_f16 v61, v42, 0x3722, -v48
	v_fmamk_f16 v64, v43, 0x2de8, v56
	v_fmamk_f16 v68, v43, 0xb8d2, v65
	v_pk_add_f16 v17, v55, v17
	v_fmamk_f16 v69, v43, 0xbacd, v67
	v_fmac_f16_e32 v44, 0x3b76, v42
	v_fma_f16 v45, v43, 0x3b76, -v45
	v_fmac_f16_e32 v46, 0x39e9, v42
	v_pk_add_f16 v17, v17, v18
	v_fma_f16 v47, v43, 0x39e9, -v47
	v_fmac_f16_e32 v48, 0x3722, v42
	v_fma_f16 v55, v42, 0x2de8, -v50
	v_fmac_f16_e32 v50, 0x2de8, v42
	v_pk_add_f16 v15, v17, v15
	v_fma_f16 v62, v42, 0xb461, -v51
	v_fmac_f16_e32 v51, 0xb461, v42
	v_fma_f16 v18, v42, 0xb8d2, -v52
	v_fmac_f16_e32 v52, 0xb8d2, v42
	v_pk_add_f16 v15, v15, v16
	v_mul_f16_e32 v16, 0xbbb2, v41
	v_mul_f16_e32 v41, 0xb1e1, v41
	v_fma_f16 v63, v42, 0xbacd, -v53
	v_fmac_f16_e32 v53, 0xbacd, v42
	v_fma_f16 v17, v42, 0xbbdd, -v54
	v_fmamk_f16 v66, v43, 0xb461, v16
	v_fmac_f16_e32 v54, 0xbbdd, v42
	v_fmamk_f16 v42, v43, 0x3722, v49
	v_fma_f16 v49, v43, 0x3722, -v49
	v_fma_f16 v56, v43, 0x2de8, -v56
	;; [unrolled: 1-line block ×5, first 2 shown]
	v_fmamk_f16 v70, v43, 0xbbdd, v41
	v_fma_f16 v41, v43, 0xbbdd, -v41
	v_add_f16_e32 v43, v13, v57
	v_add_f16_sdwa v57, v13, v58 dst_sel:DWORD dst_unused:UNUSED_PAD src0_sel:WORD_1 src1_sel:DWORD
	v_add_f16_e32 v58, v13, v59
	v_add_f16_sdwa v59, v13, v60 dst_sel:DWORD dst_unused:UNUSED_PAD src0_sel:WORD_1 src1_sel:DWORD
	;; [unrolled: 2-line block ×3, first 2 shown]
	v_add_f16_sdwa v64, v13, v66 dst_sel:DWORD dst_unused:UNUSED_PAD src0_sel:WORD_1 src1_sel:DWORD
	v_add_f16_sdwa v66, v13, v68 dst_sel:DWORD dst_unused:UNUSED_PAD src0_sel:WORD_1 src1_sel:DWORD
	;; [unrolled: 1-line block ×3, first 2 shown]
	v_mul_f16_e32 v69, 0xb964, v40
	v_mul_f16_e32 v71, 0xb964, v39
	v_add_f16_e32 v44, v13, v44
	v_add_f16_sdwa v45, v13, v45 dst_sel:DWORD dst_unused:UNUSED_PAD src0_sel:WORD_1 src1_sel:DWORD
	v_add_f16_e32 v46, v13, v46
	v_add_f16_sdwa v47, v13, v47 dst_sel:DWORD dst_unused:UNUSED_PAD src0_sel:WORD_1 src1_sel:DWORD
	v_add_f16_sdwa v42, v13, v42 dst_sel:DWORD dst_unused:UNUSED_PAD src0_sel:WORD_1 src1_sel:DWORD
	v_add_f16_e32 v48, v13, v48
	v_add_f16_sdwa v49, v13, v49 dst_sel:DWORD dst_unused:UNUSED_PAD src0_sel:WORD_1 src1_sel:DWORD
	v_add_f16_e32 v55, v13, v55
	v_add_f16_e32 v50, v13, v50
	v_add_f16_sdwa v56, v13, v56 dst_sel:DWORD dst_unused:UNUSED_PAD src0_sel:WORD_1 src1_sel:DWORD
	v_add_f16_e32 v62, v13, v62
	;; [unrolled: 3-line block ×5, first 2 shown]
	v_add_f16_sdwa v70, v13, v70 dst_sel:DWORD dst_unused:UNUSED_PAD src0_sel:WORD_1 src1_sel:DWORD
	v_add_f16_e32 v54, v13, v54
	v_fma_f16 v72, v38, 0x39e9, -v69
	v_add_f16_sdwa v41, v13, v41 dst_sel:DWORD dst_unused:UNUSED_PAD src0_sel:WORD_1 src1_sel:DWORD
	v_pk_add_f16 v13, v15, v30
	v_fmamk_f16 v15, v37, 0x39e9, v71
	v_mul_f16_e32 v30, 0xbbf7, v40
	v_fmac_f16_e32 v69, 0x39e9, v38
	v_add_f16_e32 v43, v72, v43
	v_fma_f16 v71, v37, 0x39e9, -v71
	v_add_f16_e32 v15, v15, v57
	v_fma_f16 v57, v38, 0x2de8, -v30
	v_mul_f16_e32 v72, 0xbbf7, v39
	v_add_f16_e32 v44, v69, v44
	v_mul_f16_e32 v69, 0xba62, v40
	v_add_f16_e32 v45, v71, v45
	v_add_f16_e32 v57, v57, v58
	v_fmamk_f16 v58, v37, 0x2de8, v72
	v_fmac_f16_e32 v30, 0x2de8, v38
	v_fma_f16 v71, v37, 0x2de8, -v72
	v_fma_f16 v72, v38, 0xb8d2, -v69
	v_mul_f16_e32 v73, 0xba62, v39
	v_add_f16_e32 v58, v58, v59
	v_add_f16_e32 v30, v30, v46
	v_add_f16_e32 v46, v71, v47
	v_add_f16_e32 v47, v72, v60
	v_fmamk_f16 v59, v37, 0xb8d2, v73
	v_mul_f16_e32 v60, 0xb1e1, v40
	v_fmac_f16_e32 v69, 0xb8d2, v38
	v_fma_f16 v71, v37, 0xb8d2, -v73
	v_mul_f16_e32 v72, 0xb1e1, v39
	v_add_f16_e32 v42, v59, v42
	v_fma_f16 v59, v38, 0xbbdd, -v60
	v_add_f16_e32 v48, v69, v48
	v_add_f16_e32 v49, v71, v49
	v_fmamk_f16 v69, v37, 0xbbdd, v72
	v_mul_f16_e32 v71, 0x3836, v40
	v_add_f16_e32 v55, v59, v55
	v_fmac_f16_e32 v60, 0xbbdd, v38
	v_fma_f16 v59, v37, 0xbbdd, -v72
	v_add_f16_e32 v61, v69, v61
	v_fma_f16 v69, v38, 0xbacd, -v71
	v_mul_f16_e32 v72, 0x3836, v39
	v_add_f16_e32 v50, v60, v50
	v_add_f16_e32 v56, v59, v56
	v_mul_f16_e32 v59, 0x3bb2, v40
	v_add_f16_e32 v60, v69, v62
	v_fmamk_f16 v62, v37, 0xbacd, v72
	v_fmac_f16_e32 v71, 0xbacd, v38
	v_fma_f16 v69, v37, 0xbacd, -v72
	v_mul_f16_e32 v73, 0x3bb2, v39
	v_fma_f16 v72, v38, 0xb461, -v59
	v_add_f16_e32 v62, v62, v64
	v_add_f16_e32 v51, v71, v51
	;; [unrolled: 1-line block ×3, first 2 shown]
	v_fmamk_f16 v64, v37, 0xb461, v73
	v_fmac_f16_e32 v59, 0xb461, v38
	v_mul_f16_e32 v69, 0x3b29, v40
	v_mul_f16_e32 v71, 0x3b29, v39
	;; [unrolled: 1-line block ×3, first 2 shown]
	v_add_f16_e32 v64, v64, v66
	v_add_f16_e32 v52, v59, v52
	v_fma_f16 v59, v38, 0x3722, -v69
	v_fmamk_f16 v66, v37, 0x3722, v71
	v_fmac_f16_e32 v69, 0x3722, v38
	v_mul_f16_e32 v39, 0x35c8, v39
	v_add_f16_e32 v18, v72, v18
	v_fma_f16 v72, v37, 0xb461, -v73
	v_add_f16_e32 v59, v59, v63
	v_add_f16_e32 v63, v66, v68
	;; [unrolled: 1-line block ×3, first 2 shown]
	v_fma_f16 v66, v38, 0x3b76, -v40
	v_fma_f16 v68, v37, 0x3722, -v71
	v_fmac_f16_e32 v40, 0x3b76, v38
	v_fmamk_f16 v38, v37, 0x3b76, v39
	v_mul_f16_e32 v69, 0xbb29, v29
	v_fma_f16 v37, v37, 0x3b76, -v39
	v_add_f16_e32 v39, v68, v67
	v_add_f16_e32 v17, v66, v17
	v_mul_f16_e32 v67, 0xbb29, v28
	v_fma_f16 v66, v14, 0x3722, -v69
	v_add_f16_e32 v37, v37, v41
	v_mul_f16_e32 v41, 0xba62, v29
	v_add_f16_e32 v40, v40, v54
	v_fmamk_f16 v54, v27, 0x3722, v67
	v_add_f16_e32 v43, v66, v43
	v_fma_f16 v66, v27, 0x3722, -v67
	v_fma_f16 v67, v14, 0xb8d2, -v41
	v_mul_f16_e32 v68, 0xba62, v28
	v_add_f16_e32 v15, v54, v15
	v_fmac_f16_e32 v41, 0xb8d2, v14
	v_add_f16_e32 v45, v66, v45
	v_add_f16_e32 v54, v67, v57
	v_fmamk_f16 v57, v27, 0xb8d2, v68
	v_mul_f16_e32 v66, 0x31e1, v29
	v_fma_f16 v67, v27, 0xb8d2, -v68
	v_mul_f16_e32 v68, 0x31e1, v28
	v_add_f16_e32 v30, v41, v30
	v_add_f16_e32 v57, v57, v58
	v_fma_f16 v58, v14, 0xbbdd, -v66
	v_add_f16_e32 v41, v67, v46
	v_fmamk_f16 v46, v27, 0xbbdd, v68
	v_mul_f16_e32 v67, 0x3bb2, v29
	v_fmac_f16_e32 v69, 0x3722, v14
	v_add_f16_e32 v47, v58, v47
	v_fma_f16 v58, v27, 0xbbdd, -v68
	v_fmac_f16_e32 v66, 0xbbdd, v14
	v_add_f16_e32 v42, v46, v42
	v_fma_f16 v46, v14, 0xb461, -v67
	v_mul_f16_e32 v68, 0x3bb2, v28
	v_add_f16_e32 v49, v58, v49
	v_mul_f16_e32 v58, 0x3964, v29
	v_add_f16_e32 v44, v69, v44
	v_add_f16_e32 v48, v66, v48
	v_add_f16_e32 v46, v46, v55
	v_fmamk_f16 v55, v27, 0xb461, v68
	v_fmac_f16_e32 v67, 0xb461, v14
	v_fma_f16 v66, v27, 0xb461, -v68
	v_fma_f16 v68, v14, 0x39e9, -v58
	v_mul_f16_e32 v69, 0x3964, v28
	v_add_f16_e32 v55, v55, v61
	v_add_f16_e32 v50, v67, v50
	;; [unrolled: 1-line block ×4, first 2 shown]
	v_fmamk_f16 v61, v27, 0x39e9, v69
	v_mul_f16_e32 v66, 0xb5c8, v29
	v_fmac_f16_e32 v58, 0x39e9, v14
	v_fma_f16 v67, v27, 0x39e9, -v69
	v_mul_f16_e32 v68, 0xb5c8, v28
	v_add_f16_e32 v61, v61, v62
	v_fma_f16 v62, v14, 0x3b76, -v66
	v_add_f16_e32 v51, v58, v51
	v_add_f16_e32 v16, v67, v16
	v_fmamk_f16 v58, v27, 0x3b76, v68
	v_mul_f16_e32 v67, 0xbbf7, v29
	v_add_f16_e32 v65, v72, v65
	v_add_f16_e32 v18, v62, v18
	v_fma_f16 v62, v27, 0x3b76, -v68
	v_add_f16_e32 v58, v58, v64
	v_fma_f16 v64, v14, 0x2de8, -v67
	v_mul_f16_e32 v68, 0xbbf7, v28
	v_fmac_f16_e32 v66, 0x3b76, v14
	v_add_f16_e32 v62, v62, v65
	v_mul_f16_e32 v29, 0xb836, v29
	v_add_f16_e32 v59, v64, v59
	v_fmamk_f16 v64, v27, 0x2de8, v68
	v_fma_f16 v65, v27, 0x2de8, -v68
	v_mul_f16_e32 v28, 0xb836, v28
	v_add_f16_e32 v38, v38, v70
	v_add_f16_e32 v52, v66, v52
	v_fmac_f16_e32 v67, 0x2de8, v14
	v_fma_f16 v66, v14, 0xbacd, -v29
	v_add_f16_e32 v63, v64, v63
	v_add_f16_e32 v39, v65, v39
	v_fmamk_f16 v64, v27, 0xbacd, v28
	v_mul_f16_e32 v65, 0xbbf7, v34
	v_fmac_f16_e32 v29, 0xbacd, v14
	v_fma_f16 v14, v27, 0xbacd, -v28
	v_mul_f16_e32 v27, 0xbbf7, v33
	v_add_f16_e32 v28, v64, v38
	v_fma_f16 v38, v31, 0x2de8, -v65
	v_add_f16_e32 v29, v29, v40
	v_add_f16_e32 v37, v14, v37
	v_fmamk_f16 v14, v32, 0x2de8, v27
	v_mul_f16_e32 v40, 0xb1e1, v34
	v_add_f16_e32 v38, v38, v43
	v_fmac_f16_e32 v65, 0x2de8, v31
	v_fma_f16 v27, v32, 0x2de8, -v27
	v_add_f16_e32 v43, v14, v15
	v_fma_f16 v14, v31, 0xbbdd, -v40
	v_mul_f16_e32 v15, 0xb1e1, v33
	v_add_f16_e32 v44, v65, v44
	v_mul_f16_e32 v65, 0x3bb2, v33
	v_add_f16_e32 v45, v27, v45
	v_add_f16_e32 v54, v14, v54
	v_fmamk_f16 v14, v32, 0xbbdd, v15
	v_fma_f16 v15, v32, 0xbbdd, -v15
	v_mul_f16_e32 v27, 0x3bb2, v34
	v_fmac_f16_e32 v40, 0xbbdd, v31
	v_add_f16_e32 v17, v66, v17
	v_add_f16_e32 v57, v14, v57
	;; [unrolled: 1-line block ×3, first 2 shown]
	v_fmamk_f16 v14, v32, 0xb461, v65
	v_mul_f16_e32 v15, 0x35c8, v34
	v_fma_f16 v64, v31, 0xb461, -v27
	v_add_f16_e32 v66, v40, v30
	v_fmac_f16_e32 v27, 0xb461, v31
	v_fma_f16 v30, v32, 0xb461, -v65
	v_mul_f16_e32 v40, 0x35c8, v33
	v_add_f16_e32 v42, v14, v42
	v_fma_f16 v14, v31, 0x3b76, -v15
	v_add_f16_e32 v48, v27, v48
	v_add_f16_e32 v49, v30, v49
	v_fmamk_f16 v27, v32, 0x3b76, v40
	v_mul_f16_e32 v30, 0xbb29, v34
	v_add_f16_e32 v46, v14, v46
	v_fma_f16 v14, v32, 0x3b76, -v40
	v_fmac_f16_e32 v15, 0x3b76, v31
	v_add_f16_e32 v55, v27, v55
	v_fma_f16 v27, v31, 0x3722, -v30
	v_mul_f16_e32 v40, 0xbb29, v33
	v_add_f16_e32 v56, v14, v56
	v_mul_f16_e32 v14, 0xb836, v34
	v_add_f16_e32 v47, v64, v47
	v_add_f16_e32 v50, v15, v50
	;; [unrolled: 1-line block ×3, first 2 shown]
	v_fmamk_f16 v15, v32, 0x3722, v40
	v_fma_f16 v27, v32, 0x3722, -v40
	v_fma_f16 v40, v31, 0xbacd, -v14
	v_mul_f16_e32 v64, 0xb836, v33
	v_add_f16_e32 v53, v67, v53
	v_add_f16_e32 v61, v15, v61
	;; [unrolled: 1-line block ×4, first 2 shown]
	v_fmamk_f16 v15, v32, 0xbacd, v64
	v_fmac_f16_e32 v14, 0xbacd, v31
	v_mul_f16_e32 v16, 0x3a62, v34
	v_mul_f16_e32 v18, 0x3a62, v33
	v_fma_f16 v27, v32, 0xbacd, -v64
	v_fmac_f16_e32 v30, 0x3722, v31
	v_add_f16_e32 v69, v15, v58
	v_add_f16_e32 v70, v14, v52
	v_fma_f16 v14, v31, 0xb8d2, -v16
	v_fmamk_f16 v15, v32, 0xb8d2, v18
	v_add_f16_e32 v62, v27, v62
	v_fmac_f16_e32 v16, 0xb8d2, v31
	v_mul_f16_e32 v27, 0x3964, v34
	v_add_f16_e32 v51, v30, v51
	v_add_f16_e32 v63, v15, v63
	v_fma_f16 v15, v32, 0xb8d2, -v18
	v_add_f16_e32 v72, v16, v53
	v_fma_f16 v16, v31, 0x39e9, -v27
	v_mul_f16_e32 v18, 0x3964, v33
	v_mul_f16_e32 v30, 0xbbb2, v36
	v_add_f16_e32 v73, v15, v39
	v_fmac_f16_e32 v27, 0x39e9, v31
	v_add_f16_e32 v39, v16, v17
	v_fmamk_f16 v15, v32, 0x39e9, v18
	v_fma_f16 v16, v32, 0x39e9, -v18
	v_fma_f16 v17, v25, 0xb461, -v30
	v_mul_f16_e32 v18, 0xbbb2, v35
	v_mul_f16_e32 v32, 0x3836, v35
	v_add_f16_e32 v40, v15, v28
	v_add_f16_e32 v28, v16, v37
	;; [unrolled: 1-line block ×3, first 2 shown]
	v_fmamk_f16 v16, v26, 0xb461, v18
	v_mul_f16_e32 v17, 0x3836, v36
	v_fma_f16 v18, v26, 0xb461, -v18
	v_add_f16_e32 v27, v27, v29
	v_mul_f16_e32 v37, 0x3964, v36
	v_add_f16_e32 v29, v16, v43
	v_fma_f16 v16, v25, 0xbacd, -v17
	v_add_f16_e32 v31, v18, v45
	v_fmamk_f16 v18, v26, 0xbacd, v32
	v_fma_f16 v33, v26, 0xbacd, -v32
	v_fmac_f16_e32 v30, 0xb461, v25
	v_add_f16_e32 v38, v16, v54
	v_fmac_f16_e32 v17, 0xbacd, v25
	v_add_f16_e32 v16, v18, v57
	v_fma_f16 v18, v25, 0x39e9, -v37
	v_mul_f16_e32 v43, 0x3964, v35
	v_add_f16_e32 v33, v33, v41
	v_mul_f16_e32 v41, 0xbb29, v36
	v_add_f16_e32 v30, v30, v44
	v_add_f16_e32 v32, v17, v66
	;; [unrolled: 1-line block ×3, first 2 shown]
	v_fmamk_f16 v17, v26, 0x39e9, v43
	v_fma_f16 v18, v26, 0x39e9, -v43
	v_fma_f16 v43, v25, 0x3722, -v41
	v_mul_f16_e32 v44, 0xbb29, v35
	v_fmac_f16_e32 v41, 0x3722, v25
	v_add_f16_e32 v64, v17, v42
	v_add_f16_e32 v52, v18, v49
	;; [unrolled: 1-line block ×3, first 2 shown]
	v_fmamk_f16 v18, v26, 0x3722, v44
	v_mul_f16_e32 v42, 0xb1e1, v36
	v_fma_f16 v43, v26, 0x3722, -v44
	v_mul_f16_e32 v44, 0xb1e1, v35
	v_add_f16_e32 v54, v41, v50
	v_add_f16_e32 v53, v18, v55
	v_fma_f16 v18, v25, 0xbbdd, -v42
	v_add_f16_e32 v55, v43, v56
	v_fmamk_f16 v41, v26, 0xbbdd, v44
	v_mul_f16_e32 v43, 0x3bf7, v36
	v_mul_f16_e32 v45, 0x3bf7, v35
	v_add_f16_e32 v65, v18, v60
	v_fmac_f16_e32 v42, 0xbbdd, v25
	v_add_f16_e32 v18, v41, v61
	v_fma_f16 v41, v25, 0x2de8, -v43
	v_mul_f16_e32 v46, 0xb5c8, v35
	v_fma_f16 v44, v26, 0xbbdd, -v44
	v_add_f16_e32 v56, v42, v51
	v_mul_f16_e32 v42, 0xb5c8, v36
	v_add_f16_e32 v58, v41, v68
	v_fmamk_f16 v41, v26, 0x2de8, v45
	v_mul_f16_e32 v36, 0xba62, v36
	v_add_f16_e32 v57, v44, v67
	v_fmac_f16_e32 v43, 0x2de8, v25
	v_mul_f16_e32 v35, 0xba62, v35
	v_add_f16_e32 v66, v41, v69
	v_fmamk_f16 v41, v26, 0x3b76, v46
	v_sub_f16_sdwa v67, v9, v12 dst_sel:DWORD dst_unused:UNUSED_PAD src0_sel:WORD_1 src1_sel:WORD_1
	v_add_f16_e32 v71, v14, v59
	v_fmac_f16_e32 v37, 0x39e9, v25
	v_fma_f16 v44, v26, 0x2de8, -v45
	v_add_f16_e32 v61, v41, v63
	v_fma_f16 v41, v25, 0xb8d2, -v36
	v_fma_f16 v45, v25, 0x3b76, -v42
	v_add_f16_e32 v59, v43, v70
	v_fmac_f16_e32 v42, 0x3b76, v25
	v_add_f16_e32 v69, v12, v9
	v_add_f16_e32 v68, v41, v39
	v_sub_f16_e32 v70, v9, v12
	v_mul_f16_e32 v39, 0xba62, v67
	v_fmac_f16_e32 v36, 0xb8d2, v25
	v_fma_f16 v25, v26, 0xb8d2, -v35
	v_add_f16_e32 v51, v45, v71
	v_add_f16_sdwa v71, v12, v9 dst_sel:DWORD dst_unused:UNUSED_PAD src0_sel:WORD_1 src1_sel:WORD_1
	v_mul_f16_e32 v9, 0xba62, v70
	v_fma_f16 v12, v69, 0xb8d2, -v39
	v_add_f16_e32 v49, v25, v28
	v_mul_f16_e32 v25, 0x3bb2, v67
	v_add_f16_e32 v60, v44, v62
	v_fma_f16 v43, v26, 0x3b76, -v46
	v_fmamk_f16 v44, v26, 0xb8d2, v35
	v_fmamk_f16 v26, v71, 0xb8d2, v9
	v_add_f16_e32 v47, v12, v15
	v_fma_f16 v12, v69, 0xb461, -v25
	v_mul_f16_e32 v15, 0x3bb2, v70
	v_add_f16_e32 v37, v37, v48
	v_add_f16_e32 v63, v43, v73
	v_fma_f16 v9, v71, 0xb8d2, -v9
	v_add_f16_e32 v48, v26, v29
	v_add_f16_e32 v43, v12, v38
	v_fmamk_f16 v12, v71, 0xb461, v15
	v_mul_f16_e32 v26, 0xb5c8, v70
	v_add_f16_e32 v62, v42, v72
	v_add_f16_e32 v45, v44, v40
	v_fmac_f16_e32 v39, 0xb8d2, v69
	v_add_f16_e32 v44, v9, v31
	v_mul_f16_e32 v9, 0xb5c8, v67
	v_fma_f16 v15, v71, 0xb461, -v15
	v_add_f16_e32 v42, v12, v16
	v_fmamk_f16 v12, v71, 0x3b76, v26
	v_add_f16_e32 v50, v36, v27
	v_add_f16_e32 v46, v39, v30
	v_fmac_f16_e32 v25, 0xb461, v69
	v_fma_f16 v27, v69, 0x3b76, -v9
	v_add_f16_e32 v39, v15, v33
	v_mul_f16_e32 v15, 0xb836, v67
	v_fmac_f16_e32 v9, 0x3b76, v69
	v_fma_f16 v16, v71, 0x3b76, -v26
	v_add_f16_e32 v38, v12, v64
	v_mul_f16_e32 v12, 0xb836, v70
	v_add_f16_e32 v40, v25, v32
	v_fma_f16 v25, v69, 0xbacd, -v15
	v_add_f16_e32 v37, v9, v37
	v_add_f16_e32 v36, v16, v52
	v_mul_f16_e32 v9, 0x3bf7, v67
	v_fmamk_f16 v16, v71, 0xbacd, v12
	v_add_f16_e32 v41, v27, v34
	v_add_f16_e32 v34, v25, v17
	v_fmac_f16_e32 v15, 0xbacd, v69
	v_fma_f16 v17, v69, 0x2de8, -v9
	v_add_f16_e32 v35, v16, v53
	v_mul_f16_e32 v16, 0x3bf7, v70
	v_fma_f16 v12, v71, 0xbacd, -v12
	v_add_f16_e32 v33, v15, v54
	v_add_f16_e32 v31, v17, v65
	v_fmac_f16_e32 v9, 0x2de8, v69
	v_fmamk_f16 v15, v71, 0x2de8, v16
	v_mul_f16_e32 v17, 0xb964, v70
	v_add_f16_e32 v32, v12, v55
	v_mul_f16_e32 v12, 0xb964, v67
	v_fma_f16 v16, v71, 0x2de8, -v16
	v_add_f16_e32 v30, v15, v18
	v_add_f16_e32 v28, v9, v56
	v_fmamk_f16 v9, v71, 0x39e9, v17
	v_mul_f16_e32 v15, 0xb1e1, v67
	v_fma_f16 v25, v69, 0x39e9, -v12
	v_add_f16_e32 v27, v16, v57
	v_fmac_f16_e32 v12, 0x39e9, v69
	v_fma_f16 v16, v71, 0x39e9, -v17
	v_add_f16_e32 v26, v9, v66
	v_mul_f16_e32 v9, 0xb1e1, v70
	v_fma_f16 v17, v69, 0xbbdd, -v15
	v_mul_f16_e32 v53, 0x3b29, v67
	v_add_f16_e32 v29, v25, v58
	v_add_f16_e32 v25, v12, v59
	;; [unrolled: 1-line block ×3, first 2 shown]
	v_fmamk_f16 v12, v71, 0xbbdd, v9
	v_add_f16_e32 v16, v17, v51
	v_fmac_f16_e32 v15, 0xbbdd, v69
	v_fma_f16 v9, v71, 0xbbdd, -v9
	v_fma_f16 v51, v69, 0x3722, -v53
	v_mul_f16_e32 v55, 0x3b29, v70
	v_sub_f16_sdwa v54, v10, v11 dst_sel:DWORD dst_unused:UNUSED_PAD src0_sel:WORD_1 src1_sel:WORD_1
	v_sub_f16_e32 v52, v10, v11
	v_add_f16_e32 v17, v12, v61
	v_add_f16_e32 v12, v15, v62
	;; [unrolled: 1-line block ×4, first 2 shown]
	v_fmamk_f16 v56, v71, 0x3722, v55
	v_fmac_f16_e32 v53, 0x3722, v69
	v_add_f16_e32 v51, v11, v10
	v_mul_f16_e32 v57, 0xb836, v54
	v_fma_f16 v55, v71, 0x3722, -v55
	v_add_f16_sdwa v10, v11, v10 dst_sel:DWORD dst_unused:UNUSED_PAD src0_sel:WORD_1 src1_sel:WORD_1
	v_mul_f16_e32 v11, 0xb836, v52
	v_add_f16_e32 v45, v56, v45
	v_fma_f16 v56, v51, 0xbacd, -v57
	v_add_f16_e32 v50, v53, v50
	v_add_f16_e32 v49, v55, v49
	v_fmamk_f16 v53, v10, 0xbacd, v11
	v_mul_f16_e32 v55, 0x3b29, v54
	v_fma_f16 v11, v10, 0xbacd, -v11
	v_add_f16_e32 v47, v56, v47
	v_fmac_f16_e32 v57, 0xbacd, v51
	v_add_f16_e32 v48, v53, v48
	v_fma_f16 v53, v51, 0x3722, -v55
	v_mul_f16_e32 v56, 0x3b29, v52
	v_add_f16_e32 v11, v11, v44
	v_mul_f16_e32 v44, 0xbbf7, v54
	v_add_f16_e32 v46, v57, v46
	v_add_f16_e32 v43, v53, v43
	v_fmamk_f16 v53, v10, 0x3722, v56
	v_fmac_f16_e32 v55, 0x3722, v51
	v_fma_f16 v56, v10, 0x3722, -v56
	v_fma_f16 v57, v51, 0x2de8, -v44
	v_mul_f16_e32 v58, 0xbbf7, v52
	v_add_f16_e32 v42, v53, v42
	v_add_f16_e32 v40, v55, v40
	;; [unrolled: 1-line block ×4, first 2 shown]
	v_fmamk_f16 v53, v10, 0x2de8, v58
	v_mul_f16_e32 v55, 0x3a62, v54
	v_fmac_f16_e32 v44, 0x2de8, v51
	v_fma_f16 v56, v10, 0x2de8, -v58
	v_mul_f16_e32 v57, 0x3a62, v52
	v_add_f16_e32 v38, v53, v38
	v_fma_f16 v53, v51, 0xb8d2, -v55
	v_add_f16_e32 v37, v44, v37
	v_add_f16_e32 v36, v56, v36
	v_fmamk_f16 v44, v10, 0xb8d2, v57
	v_mul_f16_e32 v56, 0xb5c8, v54
	v_add_f16_e32 v34, v53, v34
	v_fmac_f16_e32 v55, 0xb8d2, v51
	v_fma_f16 v53, v10, 0xb8d2, -v57
	v_add_f16_e32 v35, v44, v35
	v_fma_f16 v44, v51, 0x3b76, -v56
	v_mul_f16_e32 v57, 0xb5c8, v52
	v_add_f16_e32 v33, v55, v33
	v_add_f16_e32 v32, v53, v32
	v_mul_f16_e32 v53, 0xb1e1, v54
	v_add_f16_e32 v31, v44, v31
	v_fmamk_f16 v44, v10, 0x3b76, v57
	v_fma_f16 v55, v10, 0x3b76, -v57
	v_mul_f16_e32 v58, 0xb1e1, v52
	v_fma_f16 v57, v51, 0xbbdd, -v53
	v_fmac_f16_e32 v56, 0x3b76, v51
	v_add_f16_e32 v30, v44, v30
	v_add_f16_e32 v27, v55, v27
	v_fmamk_f16 v44, v10, 0xbbdd, v58
	v_mul_f16_e32 v55, 0x3964, v54
	v_add_f16_e32 v29, v57, v29
	v_fmac_f16_e32 v53, 0xbbdd, v51
	v_mul_f16_e32 v57, 0x3964, v52
	v_add_f16_e32 v26, v44, v26
	v_fma_f16 v44, v51, 0x39e9, -v55
	v_add_f16_e32 v28, v56, v28
	v_fma_f16 v56, v10, 0xbbdd, -v58
	v_add_f16_e32 v25, v53, v25
	v_fmamk_f16 v53, v10, 0x39e9, v57
	v_mul_f16_e32 v54, 0xbbb2, v54
	v_add_f16_e32 v16, v44, v16
	v_fma_f16 v44, v10, 0x39e9, -v57
	v_add_f16_e32 v18, v56, v18
	v_fmac_f16_e32 v55, 0x39e9, v51
	v_add_f16_e32 v17, v53, v17
	v_fma_f16 v53, v51, 0xb461, -v54
	v_mul_f16_e32 v52, 0xbbb2, v52
	v_add_f16_e32 v15, v44, v15
	v_sub_f16_sdwa v44, v7, v8 dst_sel:DWORD dst_unused:UNUSED_PAD src0_sel:WORD_1 src1_sel:WORD_1
	v_sub_f16_e32 v56, v7, v8
	v_add_f16_e32 v12, v55, v12
	v_add_f16_e32 v9, v53, v9
	v_fmamk_f16 v53, v10, 0xb461, v52
	v_add_f16_e32 v55, v8, v7
	v_mul_f16_e32 v57, 0xb1e1, v44
	v_fma_f16 v10, v10, 0xb461, -v52
	v_add_f16_sdwa v7, v8, v7 dst_sel:DWORD dst_unused:UNUSED_PAD src0_sel:WORD_1 src1_sel:WORD_1
	v_mul_f16_e32 v8, 0xb1e1, v56
	v_fmac_f16_e32 v54, 0xb461, v51
	v_fma_f16 v51, v55, 0xbbdd, -v57
	v_add_f16_e32 v10, v10, v49
	v_add_f16_e32 v45, v53, v45
	v_fmamk_f16 v49, v7, 0xbbdd, v8
	v_fma_f16 v8, v7, 0xbbdd, -v8
	v_add_f16_e32 v47, v51, v47
	v_mul_f16_e32 v51, 0x35c8, v44
	v_add_f16_e32 v50, v54, v50
	v_add_f16_e32 v48, v49, v48
	v_mul_f16_e32 v49, 0x35c8, v56
	v_add_f16_e32 v11, v8, v11
	v_fma_f16 v52, v55, 0x3b76, -v51
	v_mul_f16_e32 v8, 0xb836, v44
	v_fmac_f16_e32 v51, 0x3b76, v55
	v_fmamk_f16 v53, v7, 0x3b76, v49
	v_fma_f16 v49, v7, 0x3b76, -v49
	v_add_f16_e32 v43, v52, v43
	v_fma_f16 v52, v55, 0xbacd, -v8
	v_add_f16_e32 v40, v51, v40
	v_add_f16_e32 v42, v53, v42
	v_mul_f16_e32 v53, 0xb836, v56
	v_fmac_f16_e32 v8, 0xbacd, v55
	v_add_f16_e32 v41, v52, v41
	v_add_f16_e32 v39, v49, v39
	v_mul_f16_e32 v49, 0x3964, v44
	v_fmamk_f16 v51, v7, 0xbacd, v53
	v_fma_f16 v52, v7, 0xbacd, -v53
	v_mul_f16_e32 v53, 0x3964, v56
	v_add_f16_e32 v8, v8, v37
	v_fma_f16 v54, v55, 0x39e9, -v49
	v_add_f16_e32 v38, v51, v38
	v_add_f16_e32 v36, v52, v36
	v_fmamk_f16 v37, v7, 0x39e9, v53
	v_mul_f16_e32 v51, 0xba62, v44
	v_fmac_f16_e32 v49, 0x39e9, v55
	v_fma_f16 v52, v7, 0x39e9, -v53
	v_add_f16_e32 v34, v54, v34
	v_add_f16_e32 v35, v37, v35
	v_mul_f16_e32 v37, 0xba62, v56
	v_fma_f16 v53, v55, 0xb8d2, -v51
	v_add_f16_e32 v33, v49, v33
	v_add_f16_e32 v32, v52, v32
	v_mul_f16_e32 v49, 0x3b29, v44
	v_fmamk_f16 v52, v7, 0xb8d2, v37
	v_add_f16_e32 v31, v53, v31
	v_fmac_f16_e32 v51, 0xb8d2, v55
	v_fma_f16 v37, v7, 0xb8d2, -v37
	v_fma_f16 v53, v55, 0x3722, -v49
	v_add_f16_e32 v30, v52, v30
	v_mul_f16_e32 v52, 0x3b29, v56
	v_add_f16_e32 v28, v51, v28
	v_fmac_f16_e32 v49, 0x3722, v55
	v_add_f16_e32 v29, v53, v29
	v_mul_f16_e32 v53, 0xbbb2, v56
	v_fmamk_f16 v51, v7, 0x3722, v52
	v_add_f16_e32 v27, v37, v27
	v_mul_f16_e32 v37, 0xbbb2, v44
	v_fma_f16 v52, v7, 0x3722, -v52
	v_add_f16_e32 v25, v49, v25
	v_add_f16_e32 v26, v51, v26
	v_fmamk_f16 v49, v7, 0xb461, v53
	v_mul_f16_e32 v51, 0x3bf7, v56
	v_fma_f16 v54, v55, 0xb461, -v37
	v_add_f16_e32 v18, v52, v18
	v_fmac_f16_e32 v37, 0xb461, v55
	v_mul_f16_e32 v44, 0x3bf7, v44
	v_add_f16_e32 v17, v49, v17
	v_fma_f16 v49, v7, 0xb461, -v53
	v_fmamk_f16 v52, v7, 0x2de8, v51
	v_fma_f16 v7, v7, 0x2de8, -v51
	v_add_f16_e32 v16, v54, v16
	v_add_f16_e32 v12, v37, v12
	v_fma_f16 v37, v55, 0x2de8, -v44
	v_fmac_f16_e32 v44, 0x2de8, v55
	v_add_f16_e32 v7, v7, v10
	v_pack_b32_f16 v10, v41, v38
	v_and_b32_e32 v38, 0xff, v3
	v_mad_u32_u24 v14, 0x44, v3, 0
	v_add_f16_e32 v9, v37, v9
	v_add_f16_e32 v37, v52, v45
	;; [unrolled: 1-line block ×3, first 2 shown]
	v_pack_b32_f16 v45, v47, v48
	v_pack_b32_f16 v16, v16, v17
	;; [unrolled: 1-line block ×3, first 2 shown]
	v_mul_lo_u16 v26, 0xf1, v38
	v_add_f16_e32 v15, v49, v15
	ds_write2_b32 v14, v13, v45 offset1:1
	v_pack_b32_f16 v13, v43, v42
	v_pack_b32_f16 v29, v44, v7
	v_lshrrev_b16 v7, 12, v26
	v_pack_b32_f16 v30, v31, v30
	v_pack_b32_f16 v31, v34, v35
	v_fmac_f16_e32 v57, 0xbbdd, v55
	ds_write2_b32 v14, v13, v10 offset0:2 offset1:3
	ds_write2_b32 v14, v31, v30 offset0:4 offset1:5
	v_pack_b32_f16 v10, v12, v15
	v_mul_lo_u16 v12, v7, 17
	v_pack_b32_f16 v9, v9, v37
	v_add_f16_e32 v46, v57, v46
	ds_write2_b32 v14, v17, v16 offset0:6 offset1:7
	ds_write2_b32 v14, v9, v29 offset0:8 offset1:9
	v_pack_b32_f16 v9, v25, v18
	v_pack_b32_f16 v17, v8, v36
	v_sub_nc_u16 v8, v3, v12
	v_mov_b32_e32 v12, 6
	v_pack_b32_f16 v13, v33, v32
	v_pack_b32_f16 v15, v28, v27
	;; [unrolled: 1-line block ×4, first 2 shown]
	ds_write2_b32 v14, v10, v9 offset0:10 offset1:11
	ds_write2_b32 v14, v15, v13 offset0:12 offset1:13
	;; [unrolled: 1-line block ×3, first 2 shown]
	v_lshlrev_b32_sdwa v17, v12, v8 dst_sel:DWORD dst_unused:UNUSED_PAD src0_sel:DWORD src1_sel:BYTE_0
	ds_write_b32 v14, v11 offset:64
	s_waitcnt lgkmcnt(0)
	s_barrier
	buffer_gl0_inv
	s_clause 0x3
	global_load_dwordx4 v[9:12], v17, s[12:13]
	global_load_dwordx4 v[13:16], v17, s[12:13] offset:16
	global_load_dwordx4 v[35:38], v17, s[12:13] offset:32
	;; [unrolled: 1-line block ×3, first 2 shown]
	ds_read2_b32 v[17:18], v4 offset0:152 offset1:254
	ds_read2_b32 v[27:28], v20 offset0:100 offset1:202
	;; [unrolled: 1-line block ×7, first 2 shown]
	ds_read2_b32 v[49:50], v0 offset1:102
	ds_read_b32 v58, v0 offset:6528
	s_waitcnt vmcnt(0) lgkmcnt(0)
	s_barrier
	buffer_gl0_inv
	v_lshrrev_b32_e32 v24, 16, v18
	v_lshrrev_b32_e32 v51, 16, v27
	;; [unrolled: 1-line block ×15, first 2 shown]
	v_mul_f16_sdwa v29, v10, v25 dst_sel:DWORD dst_unused:UNUSED_PAD src0_sel:WORD_1 src1_sel:DWORD
	v_mul_f16_sdwa v30, v11, v26 dst_sel:DWORD dst_unused:UNUSED_PAD src0_sel:WORD_1 src1_sel:DWORD
	;; [unrolled: 1-line block ×5, first 2 shown]
	v_fma_f16 v64, v10, v22, -v29
	v_mul_f16_sdwa v22, v9, v62 dst_sel:DWORD dst_unused:UNUSED_PAD src0_sel:WORD_1 src1_sel:DWORD
	v_fma_f16 v34, v11, v23, -v30
	v_fmac_f16_e32 v63, v9, v62
	v_fmac_f16_e32 v33, v11, v26
	v_mul_f16_sdwa v11, v24, v13 dst_sel:DWORD dst_unused:UNUSED_PAD src0_sel:DWORD src1_sel:WORD_1
	v_fma_f16 v50, v9, v50, -v22
	v_mul_f16_sdwa v9, v51, v14 dst_sel:DWORD dst_unused:UNUSED_PAD src0_sel:DWORD src1_sel:WORD_1
	v_mul_f16_sdwa v29, v17, v12 dst_sel:DWORD dst_unused:UNUSED_PAD src0_sel:DWORD src1_sel:WORD_1
	v_fmac_f16_e32 v65, v10, v25
	v_fma_f16 v26, v18, v13, -v11
	v_mul_f16_sdwa v11, v53, v16 dst_sel:DWORD dst_unused:UNUSED_PAD src0_sel:DWORD src1_sel:WORD_1
	v_fma_f16 v22, v27, v14, -v9
	v_mul_f16_sdwa v9, v31, v16 dst_sel:DWORD dst_unused:UNUSED_PAD src0_sel:DWORD src1_sel:WORD_1
	v_mul_f16_sdwa v10, v19, v12 dst_sel:DWORD dst_unused:UNUSED_PAD src0_sel:DWORD src1_sel:WORD_1
	;; [unrolled: 1-line block ×3, first 2 shown]
	v_fma_f16 v11, v31, v16, -v11
	v_fmac_f16_e32 v29, v19, v12
	v_fmac_f16_e32 v9, v53, v16
	v_mul_f16_sdwa v16, v56, v37 dst_sel:DWORD dst_unused:UNUSED_PAD src0_sel:DWORD src1_sel:WORD_1
	v_lshrrev_b32_e32 v62, 16, v58
	v_fma_f16 v30, v17, v12, -v10
	v_mul_f16_sdwa v19, v27, v14 dst_sel:DWORD dst_unused:UNUSED_PAD src0_sel:DWORD src1_sel:WORD_1
	v_mul_f16_sdwa v10, v52, v15 dst_sel:DWORD dst_unused:UNUSED_PAD src0_sel:DWORD src1_sel:WORD_1
	v_fmac_f16_e32 v25, v24, v13
	v_mul_f16_sdwa v13, v28, v15 dst_sel:DWORD dst_unused:UNUSED_PAD src0_sel:DWORD src1_sel:WORD_1
	v_mul_f16_sdwa v12, v54, v35 dst_sel:DWORD dst_unused:UNUSED_PAD src0_sel:DWORD src1_sel:WORD_1
	v_mul_f16_sdwa v17, v55, v36 dst_sel:DWORD dst_unused:UNUSED_PAD src0_sel:DWORD src1_sel:WORD_1
	v_fma_f16 v24, v44, v37, -v16
	v_mul_f16_sdwa v16, v59, v39 dst_sel:DWORD dst_unused:UNUSED_PAD src0_sel:DWORD src1_sel:WORD_1
	v_fmac_f16_e32 v19, v51, v14
	v_fma_f16 v14, v28, v15, -v10
	v_fmac_f16_e32 v13, v52, v15
	v_mul_f16_sdwa v10, v32, v35 dst_sel:DWORD dst_unused:UNUSED_PAD src0_sel:DWORD src1_sel:WORD_1
	v_fma_f16 v12, v32, v35, -v12
	v_mul_f16_sdwa v15, v43, v36 dst_sel:DWORD dst_unused:UNUSED_PAD src0_sel:DWORD src1_sel:WORD_1
	v_fma_f16 v18, v43, v36, -v17
	;; [unrolled: 2-line block ×3, first 2 shown]
	v_mul_f16_sdwa v16, v62, v42 dst_sel:DWORD dst_unused:UNUSED_PAD src0_sel:DWORD src1_sel:WORD_1
	v_fmac_f16_e32 v10, v54, v35
	v_fmac_f16_e32 v15, v55, v36
	v_fma_f16 v28, v45, v38, -v17
	v_mul_f16_sdwa v17, v58, v42 dst_sel:DWORD dst_unused:UNUSED_PAD src0_sel:DWORD src1_sel:WORD_1
	v_mul_f16_sdwa v35, v60, v40 dst_sel:DWORD dst_unused:UNUSED_PAD src0_sel:DWORD src1_sel:WORD_1
	;; [unrolled: 1-line block ×3, first 2 shown]
	v_fma_f16 v16, v58, v42, -v16
	v_mul_f16_sdwa v23, v44, v37 dst_sel:DWORD dst_unused:UNUSED_PAD src0_sel:DWORD src1_sel:WORD_1
	v_fmac_f16_e32 v17, v62, v42
	v_fma_f16 v35, v47, v40, -v35
	v_fmac_f16_e32 v36, v60, v40
	v_add_f16_e32 v40, v50, v16
	v_sub_f16_e32 v43, v50, v16
	v_add_f16_e32 v50, v50, v49
	v_mul_f16_sdwa v27, v45, v38 dst_sel:DWORD dst_unused:UNUSED_PAD src0_sel:DWORD src1_sel:WORD_1
	v_fmac_f16_e32 v23, v56, v37
	v_mul_f16_sdwa v31, v46, v39 dst_sel:DWORD dst_unused:UNUSED_PAD src0_sel:DWORD src1_sel:WORD_1
	v_sub_f16_e32 v37, v63, v17
	v_add_f16_e32 v58, v63, v17
	v_add_f16_sdwa v63, v63, v49 dst_sel:DWORD dst_unused:UNUSED_PAD src0_sel:DWORD src1_sel:WORD_1
	v_add_f16_e32 v50, v50, v64
	v_fmac_f16_e32 v27, v57, v38
	v_fmac_f16_e32 v31, v59, v39
	v_mul_f16_sdwa v38, v61, v41 dst_sel:DWORD dst_unused:UNUSED_PAD src0_sel:DWORD src1_sel:WORD_1
	v_mul_f16_sdwa v39, v48, v41 dst_sel:DWORD dst_unused:UNUSED_PAD src0_sel:DWORD src1_sel:WORD_1
	v_add_f16_e32 v63, v63, v65
	v_add_f16_e32 v50, v50, v34
	v_mul_f16_e32 v42, 0xb5c8, v37
	v_fma_f16 v38, v48, v41, -v38
	v_fmac_f16_e32 v39, v61, v41
	v_mul_f16_e32 v41, 0xb964, v37
	v_mul_f16_e32 v45, 0xbb29, v37
	v_mul_f16_e32 v47, 0xbbf7, v37
	v_mul_f16_e32 v51, 0xbbb2, v37
	v_mul_f16_e32 v53, 0xba62, v37
	v_mul_f16_e32 v55, 0xb836, v37
	v_mul_f16_e32 v37, 0xb1e1, v37
	v_mul_f16_e32 v59, 0xb5c8, v43
	v_mul_f16_e32 v61, 0xb964, v43
	v_mul_f16_e32 v62, 0xbb29, v43
	v_mul_f16_e32 v67, 0xbbf7, v43
	v_mul_f16_e32 v68, 0xbbb2, v43
	v_mul_f16_e32 v72, 0xba62, v43
	v_mul_f16_e32 v73, 0xb836, v43
	v_mul_f16_e32 v43, 0xb1e1, v43
	v_add_f16_e32 v63, v63, v33
	v_add_f16_e32 v50, v50, v30
	v_fma_f16 v44, v40, 0x3b76, -v42
	v_fmac_f16_e32 v42, 0x3b76, v40
	v_fma_f16 v46, v40, 0x39e9, -v41
	v_fmac_f16_e32 v41, 0x39e9, v40
	;; [unrolled: 2-line block ×8, first 2 shown]
	v_fmamk_f16 v40, v58, 0x3b76, v59
	v_fma_f16 v59, v58, 0x3b76, -v59
	v_fmamk_f16 v66, v58, 0x39e9, v61
	v_fma_f16 v61, v58, 0x39e9, -v61
	;; [unrolled: 2-line block ×8, first 2 shown]
	v_add_f16_e32 v58, v63, v29
	v_add_f16_e32 v50, v50, v26
	v_add_f16_sdwa v63, v66, v49 dst_sel:DWORD dst_unused:UNUSED_PAD src0_sel:DWORD src1_sel:WORD_1
	v_add_f16_sdwa v66, v69, v49 dst_sel:DWORD dst_unused:UNUSED_PAD src0_sel:DWORD src1_sel:WORD_1
	;; [unrolled: 1-line block ×3, first 2 shown]
	v_add_f16_e32 v58, v58, v25
	v_add_f16_e32 v50, v50, v22
	v_add_f16_sdwa v70, v71, v49 dst_sel:DWORD dst_unused:UNUSED_PAD src0_sel:DWORD src1_sel:WORD_1
	v_add_f16_sdwa v71, v74, v49 dst_sel:DWORD dst_unused:UNUSED_PAD src0_sel:DWORD src1_sel:WORD_1
	;; [unrolled: 1-line block ×3, first 2 shown]
	v_add_f16_e32 v58, v58, v19
	v_add_f16_e32 v50, v50, v14
	v_add_f16_sdwa v75, v76, v49 dst_sel:DWORD dst_unused:UNUSED_PAD src0_sel:DWORD src1_sel:WORD_1
	v_sub_f16_e32 v76, v65, v39
	v_sub_f16_e32 v77, v64, v38
	v_add_f16_e32 v58, v58, v13
	v_add_f16_e32 v50, v50, v11
	;; [unrolled: 1-line block ×3, first 2 shown]
	v_add_f16_sdwa v40, v40, v49 dst_sel:DWORD dst_unused:UNUSED_PAD src0_sel:DWORD src1_sel:WORD_1
	v_add_f16_e32 v42, v42, v49
	v_add_f16_e32 v58, v58, v9
	v_add_f16_e32 v50, v50, v12
	v_add_f16_sdwa v59, v59, v49 dst_sel:DWORD dst_unused:UNUSED_PAD src0_sel:DWORD src1_sel:WORD_1
	v_add_f16_e32 v46, v46, v49
	v_add_f16_e32 v41, v41, v49
	v_add_f16_e32 v58, v58, v10
	v_add_f16_e32 v50, v50, v18
	v_add_f16_sdwa v61, v61, v49 dst_sel:DWORD dst_unused:UNUSED_PAD src0_sel:DWORD src1_sel:WORD_1
	v_add_f16_e32 v48, v48, v49
	;; [unrolled: 5-line block ×6, first 2 shown]
	v_add_f16_e32 v55, v55, v49
	v_add_f16_e32 v58, v58, v36
	;; [unrolled: 1-line block ×4, first 2 shown]
	v_mul_f16_e32 v64, 0xb964, v76
	v_add_f16_sdwa v73, v73, v49 dst_sel:DWORD dst_unused:UNUSED_PAD src0_sel:DWORD src1_sel:WORD_1
	v_add_f16_e32 v60, v60, v49
	v_add_f16_e32 v37, v37, v49
	;; [unrolled: 1-line block ×4, first 2 shown]
	v_mul_f16_e32 v65, 0xb964, v77
	v_add_f16_sdwa v43, v43, v49 dst_sel:DWORD dst_unused:UNUSED_PAD src0_sel:DWORD src1_sel:WORD_1
	v_fma_f16 v49, v38, 0x39e9, -v64
	v_add_f16_e32 v16, v50, v16
	v_add_f16_e32 v17, v58, v17
	v_fmamk_f16 v50, v39, 0x39e9, v65
	v_mul_f16_e32 v58, 0xbbf7, v76
	v_add_f16_e32 v44, v49, v44
	v_fma_f16 v49, v39, 0x39e9, -v65
	v_fmac_f16_e32 v64, 0x39e9, v38
	v_add_f16_e32 v40, v50, v40
	v_fma_f16 v50, v38, 0x2de8, -v58
	v_mul_f16_e32 v65, 0xbbf7, v77
	v_add_f16_e32 v49, v49, v59
	v_mul_f16_e32 v59, 0xba62, v76
	v_add_f16_e32 v42, v64, v42
	v_add_f16_e32 v46, v50, v46
	v_fmamk_f16 v50, v39, 0x2de8, v65
	v_fmac_f16_e32 v58, 0x2de8, v38
	v_fma_f16 v64, v39, 0x2de8, -v65
	v_fma_f16 v65, v38, 0xb8d2, -v59
	v_mul_f16_e32 v78, 0xba62, v77
	v_add_f16_e32 v50, v50, v63
	v_add_f16_e32 v41, v58, v41
	;; [unrolled: 1-line block ×4, first 2 shown]
	v_fmamk_f16 v61, v39, 0xb8d2, v78
	v_mul_f16_e32 v63, 0xb1e1, v76
	v_fmac_f16_e32 v59, 0xb8d2, v38
	v_fma_f16 v64, v39, 0xb8d2, -v78
	v_mul_f16_e32 v65, 0xb1e1, v77
	v_add_f16_e32 v61, v61, v66
	v_fma_f16 v66, v38, 0xbbdd, -v63
	v_add_f16_e32 v45, v59, v45
	v_add_f16_e32 v59, v64, v62
	v_fmamk_f16 v62, v39, 0xbbdd, v65
	v_mul_f16_e32 v64, 0x3836, v76
	v_fmac_f16_e32 v63, 0xbbdd, v38
	v_fma_f16 v65, v39, 0xbbdd, -v65
	v_add_f16_e32 v52, v66, v52
	v_add_f16_e32 v62, v62, v69
	v_fma_f16 v66, v38, 0xbacd, -v64
	v_mul_f16_e32 v69, 0x3836, v77
	v_add_f16_e32 v47, v63, v47
	v_add_f16_e32 v63, v65, v67
	v_mul_f16_e32 v65, 0x3bb2, v76
	v_add_f16_e32 v54, v66, v54
	v_fmamk_f16 v66, v39, 0xbacd, v69
	v_fmac_f16_e32 v64, 0xbacd, v38
	v_fma_f16 v67, v39, 0xbacd, -v69
	v_fma_f16 v69, v38, 0xb461, -v65
	v_mul_f16_e32 v78, 0x3bb2, v77
	v_fmac_f16_e32 v65, 0xb461, v38
	v_add_f16_e32 v51, v64, v51
	v_add_f16_e32 v64, v67, v68
	v_add_f16_e32 v56, v69, v56
	v_fmamk_f16 v67, v39, 0xb461, v78
	v_mul_f16_e32 v68, 0x3b29, v76
	v_mul_f16_e32 v69, 0x3b29, v77
	v_add_f16_e32 v66, v66, v70
	v_fma_f16 v70, v39, 0xb461, -v78
	v_add_f16_e32 v67, v67, v71
	v_add_f16_e32 v53, v65, v53
	v_fma_f16 v65, v38, 0x3722, -v68
	v_fmamk_f16 v71, v39, 0x3722, v69
	v_add_f16_e32 v70, v70, v72
	v_fmac_f16_e32 v68, 0x3722, v38
	v_mul_f16_e32 v72, 0x35c8, v76
	v_add_f16_e32 v57, v65, v57
	v_add_f16_e32 v65, v71, v74
	v_mul_f16_e32 v71, 0x35c8, v77
	v_add_f16_e32 v55, v68, v55
	v_fma_f16 v68, v38, 0x3b76, -v72
	v_fma_f16 v69, v39, 0x3722, -v69
	v_fmac_f16_e32 v72, 0x3b76, v38
	v_fmamk_f16 v38, v39, 0x3b76, v71
	v_sub_f16_e32 v74, v33, v36
	v_fma_f16 v39, v39, 0x3b76, -v71
	v_sub_f16_e32 v71, v34, v35
	v_add_f16_e32 v34, v34, v35
	v_add_f16_e32 v33, v33, v36
	v_mul_f16_e32 v35, 0xbb29, v74
	v_add_f16_e32 v60, v68, v60
	v_mul_f16_e32 v36, 0xbb29, v71
	v_add_f16_e32 v37, v72, v37
	v_add_f16_e32 v39, v39, v43
	v_fma_f16 v68, v34, 0x3722, -v35
	v_mul_f16_e32 v72, 0xba62, v74
	v_fmamk_f16 v43, v33, 0x3722, v36
	v_fmac_f16_e32 v35, 0x3722, v34
	v_fma_f16 v36, v33, 0x3722, -v36
	v_add_f16_e32 v44, v68, v44
	v_mul_f16_e32 v68, 0xba62, v71
	v_add_f16_e32 v40, v43, v40
	v_fma_f16 v43, v34, 0xb8d2, -v72
	v_add_f16_e32 v35, v35, v42
	v_mul_f16_e32 v42, 0x31e1, v74
	v_add_f16_e32 v69, v69, v73
	v_add_f16_e32 v36, v36, v49
	;; [unrolled: 1-line block ×3, first 2 shown]
	v_fmamk_f16 v46, v33, 0xb8d2, v68
	v_fmac_f16_e32 v72, 0xb8d2, v34
	v_fma_f16 v49, v33, 0xb8d2, -v68
	v_fma_f16 v68, v34, 0xbbdd, -v42
	v_mul_f16_e32 v73, 0x31e1, v71
	v_add_f16_e32 v46, v46, v50
	v_add_f16_e32 v41, v72, v41
	;; [unrolled: 1-line block ×4, first 2 shown]
	v_fmamk_f16 v50, v33, 0xbbdd, v73
	v_mul_f16_e32 v58, 0x3bb2, v74
	v_fmac_f16_e32 v42, 0xbbdd, v34
	v_fma_f16 v68, v33, 0xbbdd, -v73
	v_mul_f16_e32 v72, 0x3bb2, v71
	v_add_f16_e32 v50, v50, v61
	v_fma_f16 v61, v34, 0xb461, -v58
	v_add_f16_e32 v42, v42, v45
	v_add_f16_e32 v45, v68, v59
	v_fmamk_f16 v59, v33, 0xb461, v72
	v_mul_f16_e32 v68, 0x3964, v74
	v_add_f16_e32 v52, v61, v52
	v_fmac_f16_e32 v58, 0xb461, v34
	v_fma_f16 v61, v33, 0xb461, -v72
	v_add_f16_e32 v59, v59, v62
	v_fma_f16 v62, v34, 0x39e9, -v68
	v_mul_f16_e32 v72, 0x3964, v71
	v_add_f16_e32 v47, v58, v47
	v_add_f16_e32 v58, v61, v63
	v_mul_f16_e32 v61, 0xb5c8, v74
	v_add_f16_e32 v54, v62, v54
	v_fmamk_f16 v62, v33, 0x39e9, v72
	v_fmac_f16_e32 v68, 0x39e9, v34
	v_fma_f16 v63, v33, 0x39e9, -v72
	v_mul_f16_e32 v73, 0xb5c8, v71
	v_fma_f16 v72, v34, 0x3b76, -v61
	v_add_f16_e32 v62, v62, v66
	v_add_f16_e32 v51, v68, v51
	v_add_f16_e32 v63, v63, v64
	v_fmamk_f16 v64, v33, 0x3b76, v73
	v_fmac_f16_e32 v61, 0x3b76, v34
	v_mul_f16_e32 v66, 0xbbf7, v74
	v_mul_f16_e32 v68, 0xbbf7, v71
	v_add_f16_e32 v56, v72, v56
	v_fma_f16 v72, v33, 0x3b76, -v73
	v_add_f16_e32 v64, v64, v67
	v_add_f16_e32 v53, v61, v53
	v_fma_f16 v61, v34, 0x2de8, -v66
	v_fmamk_f16 v67, v33, 0x2de8, v68
	v_add_f16_e32 v70, v72, v70
	v_fmac_f16_e32 v66, 0x2de8, v34
	v_mul_f16_e32 v72, 0xb836, v74
	v_add_f16_e32 v57, v61, v57
	v_add_f16_e32 v61, v67, v65
	v_mul_f16_e32 v65, 0xb836, v71
	v_fma_f16 v67, v33, 0x2de8, -v68
	v_add_f16_e32 v55, v66, v55
	v_fma_f16 v66, v34, 0xbacd, -v72
	v_fmac_f16_e32 v72, 0xbacd, v34
	v_fmamk_f16 v34, v33, 0xbacd, v65
	v_sub_f16_e32 v68, v29, v31
	v_fma_f16 v33, v33, 0xbacd, -v65
	v_add_f16_e32 v65, v67, v69
	v_add_f16_e32 v67, v30, v32
	v_sub_f16_e32 v30, v30, v32
	v_add_f16_e32 v38, v38, v75
	v_mul_f16_e32 v32, 0xbbf7, v68
	v_add_f16_e32 v29, v29, v31
	v_add_f16_e32 v60, v66, v60
	v_mul_f16_e32 v31, 0xbbf7, v30
	v_add_f16_e32 v34, v34, v38
	v_fma_f16 v38, v67, 0x2de8, -v32
	v_add_f16_e32 v33, v33, v39
	v_mul_f16_e32 v39, 0xb1e1, v68
	v_fmamk_f16 v66, v29, 0x2de8, v31
	v_fmac_f16_e32 v32, 0x2de8, v67
	v_add_f16_e32 v38, v38, v44
	v_fma_f16 v31, v29, 0x2de8, -v31
	v_fma_f16 v44, v67, 0xbbdd, -v39
	v_add_f16_e32 v40, v66, v40
	v_mul_f16_e32 v66, 0xb1e1, v30
	v_add_f16_e32 v32, v32, v35
	v_add_f16_e32 v31, v31, v36
	v_add_f16_e32 v35, v44, v43
	v_mul_f16_e32 v36, 0x3bb2, v68
	v_fmamk_f16 v43, v29, 0xbbdd, v66
	v_fmac_f16_e32 v39, 0xbbdd, v67
	v_fma_f16 v44, v29, 0xbbdd, -v66
	v_mul_f16_e32 v66, 0x3bb2, v30
	v_fma_f16 v69, v67, 0xb461, -v36
	v_add_f16_e32 v43, v43, v46
	v_add_f16_e32 v39, v39, v41
	;; [unrolled: 1-line block ×3, first 2 shown]
	v_fmamk_f16 v44, v29, 0xb461, v66
	v_add_f16_e32 v46, v69, v48
	v_mul_f16_e32 v48, 0x35c8, v68
	v_fmac_f16_e32 v36, 0xb461, v67
	v_fma_f16 v49, v29, 0xb461, -v66
	v_add_f16_e32 v44, v44, v50
	v_mul_f16_e32 v50, 0x35c8, v30
	v_fma_f16 v66, v67, 0x3b76, -v48
	v_add_f16_e32 v36, v36, v42
	v_add_f16_e32 v42, v49, v45
	v_mul_f16_e32 v45, 0xbb29, v68
	v_fmamk_f16 v49, v29, 0x3b76, v50
	v_add_f16_e32 v52, v66, v52
	v_fmac_f16_e32 v48, 0x3b76, v67
	v_fma_f16 v50, v29, 0x3b76, -v50
	v_fma_f16 v66, v67, 0x3722, -v45
	v_add_f16_e32 v49, v49, v59
	v_mul_f16_e32 v59, 0xbb29, v30
	v_add_f16_e32 v47, v48, v47
	v_add_f16_e32 v48, v50, v58
	;; [unrolled: 1-line block ×3, first 2 shown]
	v_mul_f16_e32 v54, 0xb836, v68
	v_fmamk_f16 v58, v29, 0x3722, v59
	v_fmac_f16_e32 v45, 0x3722, v67
	v_fma_f16 v59, v29, 0x3722, -v59
	v_mul_f16_e32 v66, 0xb836, v30
	v_fma_f16 v69, v67, 0xbacd, -v54
	v_add_f16_e32 v58, v58, v62
	v_add_f16_e32 v45, v45, v51
	;; [unrolled: 1-line block ×3, first 2 shown]
	v_fmamk_f16 v59, v29, 0xbacd, v66
	v_fmac_f16_e32 v54, 0xbacd, v67
	v_mul_f16_e32 v62, 0x3a62, v68
	v_fma_f16 v63, v29, 0xbacd, -v66
	v_mul_f16_e32 v66, 0x3964, v68
	v_add_f16_e32 v59, v59, v64
	v_mul_f16_e32 v64, 0x3a62, v30
	v_add_f16_e32 v53, v54, v53
	v_fma_f16 v54, v67, 0xb8d2, -v62
	v_fmac_f16_e32 v62, 0xb8d2, v67
	v_mul_f16_e32 v30, 0x3964, v30
	v_fmamk_f16 v68, v29, 0xb8d2, v64
	v_add_f16_e32 v37, v72, v37
	v_add_f16_e32 v54, v54, v57
	v_fma_f16 v57, v29, 0xb8d2, -v64
	v_fma_f16 v64, v67, 0x39e9, -v66
	v_add_f16_e32 v55, v62, v55
	v_sub_f16_e32 v62, v25, v27
	v_add_f16_e32 v25, v25, v27
	v_add_f16_e32 v57, v57, v65
	;; [unrolled: 1-line block ×3, first 2 shown]
	v_sub_f16_e32 v26, v26, v28
	v_add_f16_e32 v60, v64, v60
	v_fmamk_f16 v64, v29, 0x39e9, v30
	v_mul_f16_e32 v28, 0xbbb2, v62
	v_fma_f16 v29, v29, 0x39e9, -v30
	v_mul_f16_e32 v27, 0xbbb2, v26
	v_fmac_f16_e32 v66, 0x39e9, v67
	v_add_f16_e32 v30, v64, v34
	v_fma_f16 v34, v65, 0xb461, -v28
	v_add_f16_e32 v29, v29, v33
	v_mul_f16_e32 v33, 0x3836, v62
	v_fmamk_f16 v64, v25, 0xb461, v27
	v_fmac_f16_e32 v28, 0xb461, v65
	v_add_f16_e32 v34, v34, v38
	v_fma_f16 v27, v25, 0xb461, -v27
	v_fma_f16 v38, v65, 0xbacd, -v33
	v_add_f16_e32 v40, v64, v40
	v_mul_f16_e32 v64, 0x3836, v26
	v_add_f16_e32 v28, v28, v32
	v_add_f16_e32 v27, v27, v31
	;; [unrolled: 1-line block ×3, first 2 shown]
	v_mul_f16_e32 v32, 0x3964, v62
	v_fmamk_f16 v35, v25, 0xbacd, v64
	v_fmac_f16_e32 v33, 0xbacd, v65
	v_fma_f16 v38, v25, 0xbacd, -v64
	v_mul_f16_e32 v64, 0x3964, v26
	v_add_f16_e32 v37, v66, v37
	v_fma_f16 v66, v65, 0x39e9, -v32
	v_add_f16_e32 v33, v33, v39
	v_add_f16_e32 v35, v35, v43
	v_fmamk_f16 v39, v25, 0x39e9, v64
	v_add_f16_e32 v38, v38, v41
	v_add_f16_e32 v41, v66, v46
	v_mul_f16_e32 v43, 0xbb29, v62
	v_fmac_f16_e32 v32, 0x39e9, v65
	v_fma_f16 v46, v25, 0x39e9, -v64
	v_add_f16_e32 v39, v39, v44
	v_mul_f16_e32 v44, 0xbb29, v26
	v_fma_f16 v64, v65, 0x3722, -v43
	v_add_f16_e32 v32, v32, v36
	v_add_f16_e32 v36, v46, v42
	v_mul_f16_e32 v42, 0xb1e1, v62
	v_fmamk_f16 v46, v25, 0x3722, v44
	v_add_f16_e32 v52, v64, v52
	v_fmac_f16_e32 v43, 0x3722, v65
	v_fma_f16 v44, v25, 0x3722, -v44
	v_fma_f16 v64, v65, 0xbbdd, -v42
	v_add_f16_e32 v46, v46, v49
	v_mul_f16_e32 v49, 0xb1e1, v26
	v_add_f16_e32 v43, v43, v47
	v_add_f16_e32 v44, v44, v48
	;; [unrolled: 1-line block ×3, first 2 shown]
	v_mul_f16_e32 v48, 0x3bf7, v62
	v_fmamk_f16 v50, v25, 0xbbdd, v49
	v_fmac_f16_e32 v42, 0xbbdd, v65
	v_fma_f16 v49, v25, 0xbbdd, -v49
	v_mul_f16_e32 v64, 0x3bf7, v26
	v_add_f16_e32 v56, v69, v56
	v_fma_f16 v66, v65, 0x2de8, -v48
	v_add_f16_e32 v42, v42, v45
	v_add_f16_e32 v45, v49, v51
	v_fmamk_f16 v49, v25, 0x2de8, v64
	v_add_f16_e32 v63, v63, v70
	v_add_f16_e32 v50, v50, v58
	;; [unrolled: 1-line block ×3, first 2 shown]
	v_mul_f16_e32 v56, 0xb5c8, v62
	v_fmac_f16_e32 v48, 0x2de8, v65
	v_fma_f16 v58, v25, 0x2de8, -v64
	v_add_f16_e32 v49, v49, v59
	v_mul_f16_e32 v59, 0xb5c8, v26
	v_add_f16_e32 v61, v68, v61
	v_fma_f16 v64, v65, 0x3b76, -v56
	v_add_f16_e32 v48, v48, v53
	v_add_f16_e32 v53, v58, v63
	v_mul_f16_e32 v58, 0xba62, v62
	v_fmamk_f16 v62, v25, 0x3b76, v59
	v_fmac_f16_e32 v56, 0x3b76, v65
	v_fma_f16 v59, v25, 0x3b76, -v59
	v_mul_f16_e32 v26, 0xba62, v26
	v_fma_f16 v63, v65, 0xb8d2, -v58
	v_add_f16_e32 v61, v62, v61
	v_add_f16_e32 v55, v56, v55
	;; [unrolled: 1-line block ×3, first 2 shown]
	v_sub_f16_e32 v59, v19, v23
	v_sub_f16_e32 v62, v22, v24
	v_add_f16_e32 v57, v63, v60
	v_fmamk_f16 v60, v25, 0xb8d2, v26
	v_fmac_f16_e32 v58, 0xb8d2, v65
	v_add_f16_e32 v22, v22, v24
	v_mul_f16_e32 v24, 0xba62, v59
	v_fma_f16 v25, v25, 0xb8d2, -v26
	v_add_f16_e32 v19, v19, v23
	v_mul_f16_e32 v23, 0xba62, v62
	v_add_f16_e32 v26, v60, v30
	v_fma_f16 v30, v22, 0xb8d2, -v24
	v_add_f16_e32 v37, v58, v37
	v_add_f16_e32 v25, v25, v29
	v_fmamk_f16 v29, v19, 0xb8d2, v23
	v_mul_f16_e32 v58, 0x3bb2, v59
	v_fma_f16 v23, v19, 0xb8d2, -v23
	v_add_f16_e32 v30, v30, v34
	v_fmac_f16_e32 v24, 0xb8d2, v22
	v_add_f16_e32 v29, v29, v40
	v_fma_f16 v34, v22, 0xb461, -v58
	v_mul_f16_e32 v40, 0x3bb2, v62
	v_add_f16_e32 v23, v23, v27
	v_mul_f16_e32 v27, 0xb5c8, v59
	v_add_f16_e32 v24, v24, v28
	v_add_f16_e32 v28, v34, v31
	v_fmamk_f16 v31, v19, 0xb461, v40
	v_fma_f16 v34, v19, 0xb461, -v40
	v_fma_f16 v40, v22, 0x3b76, -v27
	v_mul_f16_e32 v60, 0xb5c8, v62
	v_fmac_f16_e32 v58, 0xb461, v22
	v_add_f16_e32 v31, v31, v35
	v_add_f16_e32 v34, v34, v38
	;; [unrolled: 1-line block ×3, first 2 shown]
	v_fmamk_f16 v38, v19, 0x3b76, v60
	v_mul_f16_e32 v40, 0xb836, v59
	v_add_f16_e32 v33, v58, v33
	v_fmac_f16_e32 v27, 0x3b76, v22
	v_fma_f16 v41, v19, 0x3b76, -v60
	v_mul_f16_e32 v58, 0xb836, v62
	v_add_f16_e32 v38, v38, v39
	v_fma_f16 v39, v22, 0xbacd, -v40
	v_add_f16_e32 v27, v27, v32
	v_add_f16_e32 v32, v41, v36
	v_fmamk_f16 v36, v19, 0xbacd, v58
	v_mul_f16_e32 v41, 0x3bf7, v59
	v_add_f16_e32 v39, v39, v52
	v_fmac_f16_e32 v40, 0xbacd, v22
	v_fma_f16 v52, v19, 0xbacd, -v58
	v_add_f16_e32 v36, v36, v46
	v_fma_f16 v46, v22, 0x2de8, -v41
	v_mul_f16_e32 v58, 0x3bf7, v62
	v_add_f16_e32 v40, v40, v43
	v_add_f16_e32 v43, v52, v44
	v_mul_f16_e32 v44, 0xb964, v59
	v_add_f16_e32 v46, v46, v47
	v_fmamk_f16 v47, v19, 0x2de8, v58
	v_fmac_f16_e32 v41, 0x2de8, v22
	v_fma_f16 v52, v19, 0x2de8, -v58
	v_fma_f16 v58, v22, 0x39e9, -v44
	v_mul_f16_e32 v60, 0xb964, v62
	v_add_f16_e32 v47, v47, v50
	v_add_f16_e32 v41, v41, v42
	;; [unrolled: 1-line block ×4, first 2 shown]
	v_fmamk_f16 v50, v19, 0x39e9, v60
	v_mul_f16_e32 v51, 0xb1e1, v59
	v_fmac_f16_e32 v44, 0x39e9, v22
	v_fma_f16 v52, v19, 0x39e9, -v60
	v_add_f16_e32 v54, v64, v54
	v_mul_f16_e32 v58, 0xb1e1, v62
	v_add_f16_e32 v49, v50, v49
	v_fma_f16 v50, v22, 0xbbdd, -v51
	v_add_f16_e32 v44, v44, v48
	v_add_f16_e32 v48, v52, v53
	v_mul_f16_e32 v53, 0x3b29, v59
	v_fmac_f16_e32 v51, 0xbbdd, v22
	v_fmamk_f16 v52, v19, 0xbbdd, v58
	v_add_f16_e32 v50, v50, v54
	v_fma_f16 v54, v19, 0xbbdd, -v58
	v_fma_f16 v58, v22, 0x3722, -v53
	v_add_f16_e32 v51, v51, v55
	v_sub_f16_e32 v55, v13, v15
	v_mul_f16_e32 v59, 0x3b29, v62
	v_add_f16_e32 v54, v54, v56
	v_add_f16_e32 v56, v58, v57
	v_add_f16_e32 v58, v14, v18
	v_sub_f16_e32 v14, v14, v18
	v_mul_f16_e32 v18, 0xb836, v55
	v_fmamk_f16 v57, v19, 0x3722, v59
	v_fmac_f16_e32 v53, 0x3722, v22
	v_fma_f16 v19, v19, 0x3722, -v59
	v_add_f16_e32 v13, v13, v15
	v_mul_f16_e32 v15, 0xb836, v14
	v_fma_f16 v22, v58, 0xbacd, -v18
	v_add_f16_e32 v37, v53, v37
	v_add_f16_e32 v19, v19, v25
	v_fmac_f16_e32 v18, 0xbacd, v58
	v_fmamk_f16 v25, v13, 0xbacd, v15
	v_add_f16_e32 v22, v22, v30
	v_mul_f16_e32 v30, 0x3b29, v55
	v_fma_f16 v15, v13, 0xbacd, -v15
	v_add_f16_e32 v18, v18, v24
	v_add_f16_e32 v25, v25, v29
	v_mul_f16_e32 v29, 0x3b29, v14
	v_fma_f16 v53, v58, 0x3722, -v30
	v_add_f16_e32 v15, v15, v23
	v_mul_f16_e32 v23, 0xbbf7, v55
	v_fmac_f16_e32 v30, 0x3722, v58
	v_fmamk_f16 v24, v13, 0x3722, v29
	v_add_f16_e32 v28, v53, v28
	v_fma_f16 v29, v13, 0x3722, -v29
	v_fma_f16 v53, v58, 0x2de8, -v23
	v_add_f16_e32 v30, v30, v33
	v_add_f16_e32 v31, v24, v31
	v_mul_f16_e32 v24, 0xbbf7, v14
	v_add_f16_e32 v29, v29, v34
	v_add_f16_e32 v33, v53, v35
	v_mul_f16_e32 v34, 0x3a62, v55
	v_fmac_f16_e32 v23, 0x2de8, v58
	v_mul_f16_e32 v53, 0x3a62, v14
	v_add_f16_e32 v26, v57, v26
	v_fmamk_f16 v35, v13, 0x2de8, v24
	v_fma_f16 v24, v13, 0x2de8, -v24
	v_fma_f16 v57, v58, 0xb8d2, -v34
	v_add_f16_e32 v27, v23, v27
	v_fmamk_f16 v23, v13, 0xb8d2, v53
	v_add_f16_e32 v35, v35, v38
	v_add_f16_e32 v32, v24, v32
	;; [unrolled: 1-line block ×3, first 2 shown]
	v_mul_f16_e32 v24, 0xb5c8, v55
	v_fmac_f16_e32 v34, 0xb8d2, v58
	v_fma_f16 v39, v13, 0xb8d2, -v53
	v_add_f16_e32 v36, v23, v36
	v_mul_f16_e32 v23, 0xb5c8, v14
	v_fma_f16 v53, v58, 0x3b76, -v24
	v_add_f16_e32 v34, v34, v40
	v_add_f16_e32 v39, v39, v43
	v_mul_f16_e32 v40, 0xb1e1, v55
	v_fmamk_f16 v43, v13, 0x3b76, v23
	v_add_f16_e32 v46, v53, v46
	v_fmac_f16_e32 v24, 0x3b76, v58
	v_fma_f16 v23, v13, 0x3b76, -v23
	v_fma_f16 v53, v58, 0xbbdd, -v40
	v_add_f16_e32 v43, v43, v47
	v_mul_f16_e32 v47, 0xb1e1, v14
	v_add_f16_e32 v41, v24, v41
	v_add_f16_e32 v42, v23, v42
	;; [unrolled: 1-line block ×3, first 2 shown]
	v_mul_f16_e32 v23, 0x3964, v55
	v_fmamk_f16 v24, v13, 0xbbdd, v47
	v_fmac_f16_e32 v40, 0xbbdd, v58
	v_fma_f16 v47, v13, 0xbbdd, -v47
	v_mul_f16_e32 v53, 0x3964, v14
	v_add_f16_e32 v52, v52, v61
	v_fma_f16 v57, v58, 0x39e9, -v23
	v_add_f16_e32 v49, v24, v49
	v_add_f16_e32 v40, v40, v44
	;; [unrolled: 1-line block ×3, first 2 shown]
	v_fmamk_f16 v24, v13, 0x39e9, v53
	v_mul_f16_e32 v48, 0xbbb2, v55
	v_add_f16_e32 v47, v57, v50
	v_mul_f16_e32 v14, 0xbbb2, v14
	v_fmac_f16_e32 v23, 0x39e9, v58
	v_add_f16_e32 v50, v24, v52
	v_fma_f16 v52, v58, 0xb461, -v48
	v_sub_f16_e32 v55, v9, v10
	v_fma_f16 v24, v13, 0x39e9, -v53
	v_add_f16_e32 v51, v23, v51
	v_fmamk_f16 v53, v13, 0xb461, v14
	v_add_f16_e32 v52, v52, v56
	v_add_f16_e32 v56, v11, v12
	v_mul_f16_e32 v23, 0xb1e1, v55
	v_sub_f16_e32 v11, v11, v12
	v_fma_f16 v12, v13, 0xb461, -v14
	v_fmac_f16_e32 v48, 0xb461, v58
	v_add_f16_e32 v9, v9, v10
	v_fma_f16 v10, v56, 0xbbdd, -v23
	v_mul_f16_e32 v13, 0xb1e1, v11
	v_add_f16_e32 v12, v12, v19
	v_mul_f16_e32 v19, 0x35c8, v55
	v_add_f16_e32 v53, v53, v26
	v_add_f16_e32 v14, v48, v37
	v_add_f16_e32 v10, v10, v22
	v_fmamk_f16 v22, v9, 0xbbdd, v13
	v_fmac_f16_e32 v23, 0xbbdd, v56
	v_fma_f16 v13, v9, 0xbbdd, -v13
	v_fma_f16 v26, v56, 0x3b76, -v19
	v_mul_f16_e32 v37, 0x35c8, v11
	v_add_f16_e32 v54, v24, v54
	v_add_f16_e32 v48, v22, v25
	;; [unrolled: 1-line block ×5, first 2 shown]
	v_fmamk_f16 v15, v9, 0x3b76, v37
	v_mul_f16_e32 v18, 0xb836, v55
	v_fmac_f16_e32 v19, 0x3b76, v56
	v_fma_f16 v22, v9, 0x3b76, -v37
	v_mul_f16_e32 v28, 0xb836, v11
	v_add_f16_e32 v15, v15, v31
	v_fma_f16 v31, v56, 0xbacd, -v18
	v_add_f16_e32 v25, v19, v30
	v_add_f16_e32 v26, v22, v29
	v_fmamk_f16 v19, v9, 0xbacd, v28
	v_mul_f16_e32 v22, 0x3964, v55
	v_fmac_f16_e32 v18, 0xbacd, v56
	v_add_f16_e32 v33, v31, v33
	v_fma_f16 v29, v9, 0xbacd, -v28
	v_add_f16_e32 v19, v19, v35
	v_fma_f16 v31, v56, 0x39e9, -v22
	v_mul_f16_e32 v35, 0x3964, v11
	v_add_f16_e32 v28, v18, v27
	v_mul_f16_e32 v18, 0xba62, v55
	v_fmac_f16_e32 v22, 0x39e9, v56
	v_mul_f16_e32 v37, 0xba62, v11
	v_add_f16_e32 v30, v29, v32
	v_add_f16_e32 v32, v31, v38
	v_fmamk_f16 v27, v9, 0x39e9, v35
	v_fma_f16 v31, v9, 0x39e9, -v35
	v_fma_f16 v35, v56, 0xb8d2, -v18
	v_add_f16_e32 v29, v22, v34
	v_fmamk_f16 v22, v9, 0xb8d2, v37
	v_fmac_f16_e32 v18, 0xb8d2, v56
	v_add_f16_e32 v36, v27, v36
	v_add_f16_e32 v34, v35, v46
	v_mul_f16_e32 v35, 0x3b29, v55
	v_fma_f16 v27, v9, 0xb8d2, -v37
	v_mul_f16_e32 v37, 0x3b29, v11
	v_add_f16_e32 v38, v22, v43
	v_add_f16_e32 v22, v18, v41
	v_mul_f16_e32 v41, 0xbbb2, v55
	v_add_f16_e32 v31, v31, v39
	v_fma_f16 v39, v56, 0x3722, -v35
	v_add_f16_e32 v27, v27, v42
	v_fmamk_f16 v18, v9, 0x3722, v37
	v_fmac_f16_e32 v35, 0x3722, v56
	v_fma_f16 v42, v56, 0xb461, -v41
	v_fma_f16 v37, v9, 0x3722, -v37
	v_mul_f16_e32 v43, 0xbbb2, v11
	v_add_f16_e32 v18, v18, v49
	v_add_f16_e32 v35, v35, v40
	v_mul_f16_e32 v40, 0x3bf7, v55
	v_add_f16_e32 v42, v42, v47
	v_mul_f16_e32 v11, 0x3bf7, v11
	v_mov_b32_e32 v47, 0x484
	v_mov_b32_e32 v49, 2
	v_add_f16_e32 v37, v37, v44
	v_fmamk_f16 v44, v9, 0xb461, v43
	v_add_f16_e32 v39, v39, v45
	v_fma_f16 v43, v9, 0xb461, -v43
	v_fma_f16 v45, v56, 0x2de8, -v40
	v_fmamk_f16 v46, v9, 0x2de8, v11
	v_fmac_f16_e32 v40, 0x2de8, v56
	v_fma_f16 v9, v9, 0x2de8, -v11
	v_mul_u32_u24_sdwa v7, v7, v47 dst_sel:DWORD dst_unused:UNUSED_PAD src0_sel:WORD_0 src1_sel:DWORD
	v_lshlrev_b32_sdwa v8, v49, v8 dst_sel:DWORD dst_unused:UNUSED_PAD src0_sel:DWORD src1_sel:BYTE_0
	v_fmac_f16_e32 v41, 0xb461, v56
	v_add_f16_e32 v44, v44, v50
	v_add_f16_e32 v45, v45, v52
	;; [unrolled: 1-line block ×5, first 2 shown]
	v_add3_u32 v7, 0, v7, v8
	v_pack_b32_f16 v8, v16, v17
	v_pack_b32_f16 v10, v10, v48
	v_add_f16_e32 v41, v41, v51
	v_add_f16_e32 v43, v43, v54
	v_pack_b32_f16 v12, v13, v15
	v_pack_b32_f16 v13, v33, v19
	;; [unrolled: 1-line block ×6, first 2 shown]
	ds_write2_b32 v7, v8, v10 offset1:17
	ds_write2_b32 v7, v12, v13 offset0:34 offset1:51
	ds_write2_b32 v7, v15, v16 offset0:68 offset1:85
	;; [unrolled: 1-line block ×3, first 2 shown]
	v_pack_b32_f16 v8, v45, v11
	v_pack_b32_f16 v9, v14, v9
	;; [unrolled: 1-line block ×8, first 2 shown]
	v_add_nc_u32_e32 v34, 0x1000, v0
	v_pack_b32_f16 v16, v23, v24
	v_add_nc_u32_e32 v35, 0x1600, v0
	ds_write2_b32 v7, v8, v9 offset0:136 offset1:153
	ds_write2_b32 v7, v10, v11 offset0:170 offset1:187
	;; [unrolled: 1-line block ×4, first 2 shown]
	ds_write_b32 v7, v16 offset:1088
	s_waitcnt lgkmcnt(0)
	s_barrier
	buffer_gl0_inv
	ds_read2_b32 v[7:8], v0 offset1:102
	ds_read2_b32 v[17:18], v4 offset0:33 offset1:135
	ds_read2_b32 v[15:16], v20 offset0:66 offset1:168
	;; [unrolled: 1-line block ×5, first 2 shown]
                                        ; implicit-def: $vgpr33
                                        ; implicit-def: $vgpr32
	s_and_saveexec_b32 s1, s0
	s_cbranch_execz .LBB0_23
; %bb.22:
	ds_read_b32 v22, v0 offset:816
	ds_read_b32 v29, v0 offset:1972
	;; [unrolled: 1-line block ×6, first 2 shown]
	s_waitcnt lgkmcnt(5)
	v_lshrrev_b32_e32 v27, 16, v22
	s_waitcnt lgkmcnt(4)
	v_lshrrev_b32_e32 v31, 16, v29
	;; [unrolled: 2-line block ×6, first 2 shown]
.LBB0_23:
	s_or_b32 exec_lo, exec_lo, s1
	v_mul_u32_u24_e32 v19, 5, v3
	s_waitcnt lgkmcnt(0)
	v_lshrrev_b32_e32 v53, 16, v9
	v_lshrrev_b32_e32 v54, 16, v11
	;; [unrolled: 1-line block ×4, first 2 shown]
	v_lshlrev_b32_e32 v19, 2, v19
	v_lshrrev_b32_e32 v57, 16, v17
	v_lshrrev_b32_e32 v49, 16, v10
	;; [unrolled: 1-line block ×4, first 2 shown]
	s_clause 0x1
	global_load_dwordx4 v[36:39], v19, s[12:13] offset:1088
	global_load_dword v46, v19, s[12:13] offset:1104
	v_add_co_u32 v19, s1, s12, v19
	v_add_co_ci_u32_e64 v40, null, s13, 0, s1
	v_lshrrev_b32_e32 v51, 16, v16
	v_add_co_u32 v44, s1, 0x7f8, v19
	v_add_co_ci_u32_e64 v45, s1, 0, v40, s1
	v_lshrrev_b32_e32 v52, 16, v18
	v_lshrrev_b32_e32 v47, 16, v8
	s_clause 0x1
	global_load_dwordx4 v[40:43], v[44:45], off offset:1088
	global_load_dword v44, v[44:45], off offset:1104
	v_lshrrev_b32_e32 v45, 16, v7
	v_mov_b32_e32 v19, 0
	s_waitcnt vmcnt(0)
	s_barrier
	buffer_gl0_inv
	v_mul_f16_sdwa v59, v36, v17 dst_sel:DWORD dst_unused:UNUSED_PAD src0_sel:WORD_1 src1_sel:DWORD
	v_mul_f16_sdwa v63, v38, v13 dst_sel:DWORD dst_unused:UNUSED_PAD src0_sel:WORD_1 src1_sel:DWORD
	;; [unrolled: 1-line block ×10, first 2 shown]
	v_fmac_f16_e32 v59, v36, v57
	v_fmac_f16_e32 v63, v38, v55
	;; [unrolled: 1-line block ×3, first 2 shown]
	v_fma_f16 v17, v36, v17, -v58
	v_fma_f16 v15, v37, v15, -v60
	v_fmac_f16_e32 v61, v37, v56
	v_fma_f16 v13, v38, v13, -v62
	v_fma_f16 v11, v39, v11, -v64
	v_fmac_f16_e32 v65, v39, v54
	v_fma_f16 v9, v46, v9, -v66
	v_mul_f16_sdwa v39, v41, v16 dst_sel:DWORD dst_unused:UNUSED_PAD src0_sel:WORD_1 src1_sel:DWORD
	v_mul_f16_sdwa v46, v42, v50 dst_sel:DWORD dst_unused:UNUSED_PAD src0_sel:WORD_1 src1_sel:DWORD
	;; [unrolled: 1-line block ×3, first 2 shown]
	v_mul_f16_sdwa v55, v12, v43 dst_sel:DWORD dst_unused:UNUSED_PAD src0_sel:DWORD src1_sel:WORD_1
	v_mul_f16_sdwa v56, v49, v44 dst_sel:DWORD dst_unused:UNUSED_PAD src0_sel:DWORD src1_sel:WORD_1
	;; [unrolled: 1-line block ×3, first 2 shown]
	v_sub_f16_e32 v69, v63, v67
	v_add_f16_e32 v70, v59, v63
	v_add_f16_e32 v63, v63, v67
	v_mul_f16_sdwa v36, v40, v52 dst_sel:DWORD dst_unused:UNUSED_PAD src0_sel:WORD_1 src1_sel:DWORD
	v_mul_f16_sdwa v37, v40, v18 dst_sel:DWORD dst_unused:UNUSED_PAD src0_sel:WORD_1 src1_sel:DWORD
	;; [unrolled: 1-line block ×3, first 2 shown]
	v_mul_f16_sdwa v54, v48, v43 dst_sel:DWORD dst_unused:UNUSED_PAD src0_sel:DWORD src1_sel:WORD_1
	v_add_f16_e32 v58, v7, v15
	v_sub_f16_e32 v62, v61, v65
	v_add_f16_e32 v64, v45, v61
	v_add_f16_e32 v61, v61, v65
	;; [unrolled: 1-line block ×4, first 2 shown]
	v_sub_f16_e32 v13, v13, v9
	v_fmac_f16_e32 v39, v41, v51
	v_fma_f16 v14, v42, v14, -v46
	v_fmac_f16_e32 v53, v42, v50
	v_fmac_f16_e32 v55, v48, v43
	v_fma_f16 v10, v10, v44, -v56
	v_fmac_f16_e32 v57, v49, v44
	v_fmac_f16_e32 v59, -0.5, v63
	v_add_f16_e32 v60, v15, v11
	v_sub_f16_e32 v15, v15, v11
	v_fma_f16 v18, v40, v18, -v36
	v_fmac_f16_e32 v37, v40, v52
	v_fma_f16 v16, v41, v16, -v38
	v_fma_f16 v12, v12, v43, -v54
	v_add_f16_e32 v11, v58, v11
	v_add_f16_e32 v36, v64, v65
	v_fmac_f16_e32 v45, -0.5, v61
	v_add_f16_e32 v9, v66, v9
	v_fmac_f16_e32 v17, -0.5, v68
	v_add_f16_e32 v38, v70, v67
	v_fmamk_f16 v42, v13, 0xbaee, v59
	v_fmac_f16_e32 v59, 0x3aee, v13
	v_sub_f16_e32 v44, v39, v55
	v_add_f16_e32 v46, v47, v39
	v_add_f16_e32 v39, v39, v55
	v_add_f16_e32 v49, v14, v10
	v_add_f16_e32 v52, v53, v57
	v_fmamk_f16 v41, v15, 0xbaee, v45
	v_fmac_f16_e32 v45, 0x3aee, v15
	v_fmamk_f16 v15, v69, 0x3aee, v17
	v_fmac_f16_e32 v17, 0xbaee, v69
	v_add_f16_e32 v13, v11, v9
	v_add_f16_e32 v43, v36, v38
	v_sub_f16_e32 v9, v11, v9
	v_sub_f16_e32 v11, v36, v38
	v_add_f16_e32 v36, v8, v16
	v_add_f16_e32 v38, v16, v12
	v_sub_f16_e32 v16, v16, v12
	v_add_f16_e32 v48, v18, v14
	v_sub_f16_e32 v50, v53, v57
	;; [unrolled: 2-line block ×3, first 2 shown]
	v_mul_f16_e32 v53, 0x3aee, v42
	v_mul_f16_e32 v58, -0.5, v59
	v_fmac_f16_e32 v47, -0.5, v39
	v_fmac_f16_e32 v18, -0.5, v49
	;; [unrolled: 1-line block ×3, first 2 shown]
	v_mul_f16_e32 v54, -0.5, v17
	v_mul_f16_e32 v56, 0xbaee, v15
	v_fmac_f16_e32 v8, -0.5, v38
	v_fmac_f16_e32 v53, 0.5, v15
	v_fmac_f16_e32 v58, 0xbaee, v17
	v_fmamk_f16 v15, v16, 0xbaee, v47
	v_fmac_f16_e32 v47, 0x3aee, v16
	v_fmamk_f16 v16, v50, 0x3aee, v18
	v_fmamk_f16 v17, v14, 0xbaee, v37
	v_fma_f16 v7, -0.5, v60, v7
	v_fmac_f16_e32 v18, 0xbaee, v50
	v_fmac_f16_e32 v37, 0x3aee, v14
	v_add_f16_e32 v12, v36, v12
	v_add_f16_e32 v36, v46, v55
	;; [unrolled: 1-line block ×4, first 2 shown]
	v_pack_b32_f16 v13, v13, v43
	v_pack_b32_f16 v9, v9, v11
	v_fmamk_f16 v11, v44, 0x3aee, v8
	v_fmac_f16_e32 v8, 0xbaee, v44
	v_add_f16_e32 v43, v45, v58
	v_sub_f16_e32 v44, v45, v58
	v_mul_f16_e32 v45, 0x3aee, v17
	v_mul_f16_e32 v48, 0xbaee, v16
	v_fmamk_f16 v40, v62, 0x3aee, v7
	v_fmac_f16_e32 v7, 0xbaee, v62
	v_fmac_f16_e32 v54, 0x3aee, v59
	v_fmac_f16_e32 v56, 0.5, v42
	v_mul_f16_e32 v46, -0.5, v18
	v_mul_f16_e32 v49, -0.5, v37
	v_add_f16_e32 v14, v12, v10
	v_add_f16_e32 v39, v36, v38
	v_fmac_f16_e32 v45, 0.5, v16
	v_fmac_f16_e32 v48, 0.5, v17
	v_sub_f16_e32 v10, v12, v10
	v_sub_f16_e32 v12, v36, v38
	v_add_f16_e32 v36, v40, v53
	v_add_f16_e32 v38, v7, v54
	;; [unrolled: 1-line block ×3, first 2 shown]
	v_fmac_f16_e32 v46, 0x3aee, v37
	v_fmac_f16_e32 v49, 0xbaee, v18
	v_pack_b32_f16 v14, v14, v39
	v_add_f16_e32 v18, v11, v45
	v_add_f16_e32 v37, v15, v48
	v_pack_b32_f16 v10, v10, v12
	v_pack_b32_f16 v12, v36, v42
	;; [unrolled: 1-line block ×3, first 2 shown]
	v_add_f16_e32 v36, v8, v46
	v_add_f16_e32 v38, v47, v49
	v_sub_f16_e32 v40, v40, v53
	v_sub_f16_e32 v41, v41, v56
	;; [unrolled: 1-line block ×7, first 2 shown]
	ds_write2_b32 v0, v13, v14 offset1:102
	v_pack_b32_f16 v13, v18, v37
	v_pack_b32_f16 v14, v36, v38
	;; [unrolled: 1-line block ×6, first 2 shown]
	ds_write2_b32 v21, v9, v10 offset0:99 offset1:201
	ds_write2_b32 v4, v12, v13 offset0:33 offset1:135
	;; [unrolled: 1-line block ×5, first 2 shown]
	s_and_saveexec_b32 s1, s0
	s_cbranch_execz .LBB0_25
; %bb.24:
	v_add_nc_u32_e32 v4, 0xcc, v3
	v_add_nc_u32_e32 v7, 0xffffffab, v3
	v_cndmask_b32_e64 v4, v7, v4, s0
	v_mul_i32_i24_e32 v18, 5, v4
	v_lshlrev_b64 v[7:8], 2, v[18:19]
	v_add_co_u32 v11, s0, s12, v7
	v_add_co_ci_u32_e64 v12, s0, s13, v8, s0
	s_clause 0x1
	global_load_dwordx4 v[7:10], v[11:12], off offset:1088
	global_load_dword v4, v[11:12], off offset:1104
	s_waitcnt vmcnt(1)
	v_mul_f16_sdwa v11, v30, v8 dst_sel:DWORD dst_unused:UNUSED_PAD src0_sel:DWORD src1_sel:WORD_1
	v_mul_f16_sdwa v12, v24, v10 dst_sel:DWORD dst_unused:UNUSED_PAD src0_sel:DWORD src1_sel:WORD_1
	;; [unrolled: 1-line block ×6, first 2 shown]
	s_waitcnt vmcnt(0)
	v_mul_f16_sdwa v17, v33, v4 dst_sel:DWORD dst_unused:UNUSED_PAD src0_sel:DWORD src1_sel:WORD_1
	v_mul_f16_sdwa v18, v25, v9 dst_sel:DWORD dst_unused:UNUSED_PAD src0_sel:DWORD src1_sel:WORD_1
	;; [unrolled: 1-line block ×4, first 2 shown]
	v_fma_f16 v11, v28, v8, -v11
	v_fma_f16 v12, v23, v10, -v12
	v_fmac_f16_e32 v13, v30, v8
	v_fmac_f16_e32 v14, v24, v10
	v_fma_f16 v8, v29, v7, -v15
	v_fma_f16 v10, v25, v9, -v16
	;; [unrolled: 1-line block ×3, first 2 shown]
	v_fmac_f16_e32 v18, v26, v9
	v_fmac_f16_e32 v19, v33, v4
	;; [unrolled: 1-line block ×3, first 2 shown]
	v_sub_f16_e32 v4, v11, v12
	v_add_f16_e32 v9, v10, v15
	v_sub_f16_e32 v17, v10, v15
	v_add_f16_e32 v21, v18, v19
	;; [unrolled: 2-line block ×3, first 2 shown]
	v_add_f16_e32 v24, v11, v12
	v_add_f16_e32 v11, v22, v11
	;; [unrolled: 1-line block ×3, first 2 shown]
	v_fma_f16 v8, -0.5, v9, v8
	v_fma_f16 v9, -0.5, v21, v20
	v_add_f16_e32 v7, v13, v14
	v_add_f16_e32 v23, v27, v13
	v_sub_f16_e32 v13, v13, v14
	v_add_f16_e32 v18, v18, v19
	v_fma_f16 v19, -0.5, v24, v22
	v_add_f16_e32 v11, v11, v12
	v_add_f16_e32 v10, v10, v15
	v_fmamk_f16 v15, v16, 0xbaee, v8
	v_fmamk_f16 v20, v17, 0x3aee, v9
	v_fmac_f16_e32 v9, 0xbaee, v17
	v_fmac_f16_e32 v8, 0x3aee, v16
	v_fma_f16 v7, -0.5, v7, v27
	v_add_f16_e32 v14, v23, v14
	v_fmamk_f16 v16, v13, 0xbaee, v19
	v_fmac_f16_e32 v19, 0x3aee, v13
	v_sub_f16_e32 v13, v11, v10
	v_add_f16_e32 v10, v11, v10
	v_mul_f16_e32 v11, -0.5, v20
	v_mul_f16_e32 v17, 0xbaee, v8
	v_mul_f16_e32 v21, 0x3aee, v9
	v_fmamk_f16 v12, v4, 0x3aee, v7
	v_fmac_f16_e32 v7, 0xbaee, v4
	v_sub_f16_e32 v4, v14, v18
	v_add_f16_e32 v14, v14, v18
	v_mul_f16_e32 v18, -0.5, v15
	v_fmac_f16_e32 v11, 0xbaee, v15
	v_fmac_f16_e32 v17, 0.5, v9
	v_fmac_f16_e32 v21, 0.5, v8
	v_pack_b32_f16 v10, v10, v14
	v_fmac_f16_e32 v18, 0x3aee, v20
	v_sub_f16_e32 v8, v12, v11
	v_sub_f16_e32 v9, v7, v17
	v_add_f16_e32 v11, v12, v11
	v_add_f16_e32 v7, v7, v17
	;; [unrolled: 1-line block ×3, first 2 shown]
	v_pack_b32_f16 v4, v13, v4
	v_add_f16_e32 v13, v16, v18
	v_sub_f16_e32 v14, v19, v21
	v_sub_f16_e32 v15, v16, v18
	v_pack_b32_f16 v7, v12, v7
	ds_write_b32 v0, v10 offset:816
	v_pack_b32_f16 v10, v13, v11
	v_pack_b32_f16 v9, v14, v9
	;; [unrolled: 1-line block ×3, first 2 shown]
	ds_write_b32 v0, v4 offset:4284
	ds_write_b32 v0, v7 offset:1972
	;; [unrolled: 1-line block ×5, first 2 shown]
.LBB0_25:
	s_or_b32 exec_lo, exec_lo, s1
	s_waitcnt lgkmcnt(0)
	s_barrier
	buffer_gl0_inv
	s_and_saveexec_b32 s0, vcc_lo
	s_cbranch_execz .LBB0_27
; %bb.26:
	v_mul_lo_u32 v0, s3, v5
	v_mul_lo_u32 v7, s2, v6
	v_mad_u64_u32 v[5:6], null, s2, v5, 0
	v_lshl_add_u32 v19, v3, 2, 0
	v_mov_b32_e32 v4, 0
	v_add_nc_u32_e32 v9, 0xcc, v3
	ds_read2_b32 v[11:12], v19 offset1:102
	v_add3_u32 v6, v6, v7, v0
	v_lshlrev_b64 v[0:1], 2, v[1:2]
	v_add_nc_u32_e32 v2, 0x200, v19
	v_add_nc_u32_e32 v7, 0x66, v3
	v_lshlrev_b64 v[13:14], 2, v[3:4]
	v_lshlrev_b64 v[5:6], 2, v[5:6]
	v_mov_b32_e32 v8, v4
	v_mov_b32_e32 v10, v4
	v_add_co_u32 v15, vcc_lo, s10, v5
	v_add_co_ci_u32_e32 v16, vcc_lo, s11, v6, vcc_lo
	v_lshlrev_b64 v[5:6], 2, v[7:8]
	v_add_co_u32 v20, vcc_lo, v15, v0
	v_add_co_ci_u32_e32 v21, vcc_lo, v16, v1, vcc_lo
	ds_read2_b32 v[0:1], v2 offset0:76 offset1:178
	v_add_co_u32 v7, vcc_lo, v20, v13
	v_add_co_ci_u32_e32 v8, vcc_lo, v21, v14, vcc_lo
	v_lshlrev_b64 v[9:10], 2, v[9:10]
	v_add_nc_u32_e32 v13, 0x132, v3
	v_mov_b32_e32 v14, v4
	v_add_co_u32 v5, vcc_lo, v20, v5
	v_add_co_ci_u32_e32 v6, vcc_lo, v21, v6, vcc_lo
	v_lshlrev_b64 v[13:14], 2, v[13:14]
	v_add_co_u32 v9, vcc_lo, v20, v9
	v_add_co_ci_u32_e32 v10, vcc_lo, v21, v10, vcc_lo
	s_waitcnt lgkmcnt(1)
	global_store_dword v[7:8], v11, off
	global_store_dword v[5:6], v12, off
	s_waitcnt lgkmcnt(0)
	global_store_dword v[9:10], v0, off
	v_add_co_u32 v5, vcc_lo, v20, v13
	v_add_co_ci_u32_e32 v6, vcc_lo, v21, v14, vcc_lo
	v_add_nc_u32_e32 v0, 0x400, v19
	v_add_nc_u32_e32 v2, 0x800, v19
	;; [unrolled: 1-line block ×3, first 2 shown]
	v_mov_b32_e32 v8, v4
	v_add_nc_u32_e32 v9, 0x1fe, v3
	v_mov_b32_e32 v10, v4
	global_store_dword v[5:6], v1, off
	ds_read2_b32 v[0:1], v0 offset0:152 offset1:254
	ds_read2_b32 v[11:12], v2 offset0:100 offset1:202
	v_lshlrev_b64 v[5:6], 2, v[7:8]
	v_lshlrev_b64 v[7:8], 2, v[9:10]
	v_add_nc_u32_e32 v9, 0x264, v3
	v_add_nc_u32_e32 v2, 0xc00, v19
	v_add_nc_u32_e32 v13, 0x2ca, v3
	v_mov_b32_e32 v14, v4
	v_add_co_u32 v5, vcc_lo, v20, v5
	v_lshlrev_b64 v[9:10], 2, v[9:10]
	v_add_co_ci_u32_e32 v6, vcc_lo, v21, v6, vcc_lo
	v_add_co_u32 v7, vcc_lo, v20, v7
	ds_read2_b32 v[17:18], v2 offset0:48 offset1:150
	v_add_co_ci_u32_e32 v8, vcc_lo, v21, v8, vcc_lo
	v_add_co_u32 v9, vcc_lo, v20, v9
	v_add_nc_u32_e32 v15, 0x330, v3
	v_mov_b32_e32 v16, v4
	v_add_co_ci_u32_e32 v10, vcc_lo, v21, v10, vcc_lo
	v_lshlrev_b64 v[13:14], 2, v[13:14]
	s_waitcnt lgkmcnt(2)
	global_store_dword v[5:6], v0, off
	global_store_dword v[7:8], v1, off
	s_waitcnt lgkmcnt(1)
	global_store_dword v[9:10], v11, off
	v_lshlrev_b64 v[0:1], 2, v[15:16]
	v_add_nc_u32_e32 v2, 0xe00, v19
	v_add_nc_u32_e32 v7, 0x396, v3
	v_mov_b32_e32 v8, v4
	v_add_co_u32 v5, vcc_lo, v20, v13
	v_add_co_ci_u32_e32 v6, vcc_lo, v21, v14, vcc_lo
	v_add_co_u32 v0, vcc_lo, v20, v0
	v_add_co_ci_u32_e32 v1, vcc_lo, v21, v1, vcc_lo
	v_add_nc_u32_e32 v9, 0x3fc, v3
	v_mov_b32_e32 v10, v4
	global_store_dword v[5:6], v12, off
	s_waitcnt lgkmcnt(0)
	global_store_dword v[0:1], v17, off
	ds_read2_b32 v[5:6], v2 offset0:124 offset1:226
	v_lshlrev_b64 v[0:1], 2, v[7:8]
	v_add_nc_u32_e32 v2, 0x1200, v19
	v_lshlrev_b64 v[7:8], 2, v[9:10]
	v_add_nc_u32_e32 v9, 0x462, v3
	v_add_nc_u32_e32 v11, 0x4c8, v3
	v_mov_b32_e32 v12, v4
	v_add_co_u32 v0, vcc_lo, v20, v0
	v_lshlrev_b64 v[9:10], 2, v[9:10]
	v_add_co_ci_u32_e32 v1, vcc_lo, v21, v1, vcc_lo
	v_add_co_u32 v7, vcc_lo, v20, v7
	v_add_co_ci_u32_e32 v8, vcc_lo, v21, v8, vcc_lo
	v_add_co_u32 v9, vcc_lo, v20, v9
	v_add_co_ci_u32_e32 v10, vcc_lo, v21, v10, vcc_lo
	global_store_dword v[0:1], v18, off
	s_waitcnt lgkmcnt(0)
	global_store_dword v[7:8], v5, off
	global_store_dword v[9:10], v6, off
	ds_read2_b32 v[0:1], v2 offset0:72 offset1:174
	v_add_nc_u32_e32 v7, 0x52e, v3
	v_mov_b32_e32 v8, v4
	v_add_nc_u32_e32 v2, 0x1400, v19
	v_lshlrev_b64 v[5:6], 2, v[11:12]
	v_add_nc_u32_e32 v9, 0x594, v3
	v_mov_b32_e32 v10, v4
	v_lshlrev_b64 v[7:8], 2, v[7:8]
	ds_read2_b32 v[11:12], v2 offset0:148 offset1:250
	v_add_nc_u32_e32 v13, 0x5fa, v3
	v_mov_b32_e32 v14, v4
	ds_read_b32 v15, v19 offset:6528
	v_add_co_u32 v5, vcc_lo, v20, v5
	v_lshlrev_b64 v[9:10], 2, v[9:10]
	v_add_nc_u32_e32 v3, 0x660, v3
	v_add_co_ci_u32_e32 v6, vcc_lo, v21, v6, vcc_lo
	v_add_co_u32 v7, vcc_lo, v20, v7
	v_lshlrev_b64 v[13:14], 2, v[13:14]
	v_add_co_ci_u32_e32 v8, vcc_lo, v21, v8, vcc_lo
	v_add_co_u32 v9, vcc_lo, v20, v9
	v_lshlrev_b64 v[2:3], 2, v[3:4]
	v_add_co_ci_u32_e32 v10, vcc_lo, v21, v10, vcc_lo
	v_add_co_u32 v13, vcc_lo, v20, v13
	v_add_co_ci_u32_e32 v14, vcc_lo, v21, v14, vcc_lo
	v_add_co_u32 v2, vcc_lo, v20, v2
	v_add_co_ci_u32_e32 v3, vcc_lo, v21, v3, vcc_lo
	s_waitcnt lgkmcnt(2)
	global_store_dword v[5:6], v0, off
	global_store_dword v[7:8], v1, off
	s_waitcnt lgkmcnt(1)
	global_store_dword v[9:10], v11, off
	global_store_dword v[13:14], v12, off
	s_waitcnt lgkmcnt(0)
	global_store_dword v[2:3], v15, off
.LBB0_27:
	s_endpgm
	.section	.rodata,"a",@progbits
	.p2align	6, 0x0
	.amdhsa_kernel fft_rtc_fwd_len1734_factors_17_17_6_wgs_102_tpt_102_halfLds_half_op_CI_CI_unitstride_sbrr_C2R_dirReg
		.amdhsa_group_segment_fixed_size 0
		.amdhsa_private_segment_fixed_size 0
		.amdhsa_kernarg_size 104
		.amdhsa_user_sgpr_count 6
		.amdhsa_user_sgpr_private_segment_buffer 1
		.amdhsa_user_sgpr_dispatch_ptr 0
		.amdhsa_user_sgpr_queue_ptr 0
		.amdhsa_user_sgpr_kernarg_segment_ptr 1
		.amdhsa_user_sgpr_dispatch_id 0
		.amdhsa_user_sgpr_flat_scratch_init 0
		.amdhsa_user_sgpr_private_segment_size 0
		.amdhsa_wavefront_size32 1
		.amdhsa_uses_dynamic_stack 0
		.amdhsa_system_sgpr_private_segment_wavefront_offset 0
		.amdhsa_system_sgpr_workgroup_id_x 1
		.amdhsa_system_sgpr_workgroup_id_y 0
		.amdhsa_system_sgpr_workgroup_id_z 0
		.amdhsa_system_sgpr_workgroup_info 0
		.amdhsa_system_vgpr_workitem_id 0
		.amdhsa_next_free_vgpr 79
		.amdhsa_next_free_sgpr 27
		.amdhsa_reserve_vcc 1
		.amdhsa_reserve_flat_scratch 0
		.amdhsa_float_round_mode_32 0
		.amdhsa_float_round_mode_16_64 0
		.amdhsa_float_denorm_mode_32 3
		.amdhsa_float_denorm_mode_16_64 3
		.amdhsa_dx10_clamp 1
		.amdhsa_ieee_mode 1
		.amdhsa_fp16_overflow 0
		.amdhsa_workgroup_processor_mode 1
		.amdhsa_memory_ordered 1
		.amdhsa_forward_progress 0
		.amdhsa_shared_vgpr_count 0
		.amdhsa_exception_fp_ieee_invalid_op 0
		.amdhsa_exception_fp_denorm_src 0
		.amdhsa_exception_fp_ieee_div_zero 0
		.amdhsa_exception_fp_ieee_overflow 0
		.amdhsa_exception_fp_ieee_underflow 0
		.amdhsa_exception_fp_ieee_inexact 0
		.amdhsa_exception_int_div_zero 0
	.end_amdhsa_kernel
	.text
.Lfunc_end0:
	.size	fft_rtc_fwd_len1734_factors_17_17_6_wgs_102_tpt_102_halfLds_half_op_CI_CI_unitstride_sbrr_C2R_dirReg, .Lfunc_end0-fft_rtc_fwd_len1734_factors_17_17_6_wgs_102_tpt_102_halfLds_half_op_CI_CI_unitstride_sbrr_C2R_dirReg
                                        ; -- End function
	.section	.AMDGPU.csdata,"",@progbits
; Kernel info:
; codeLenInByte = 17380
; NumSgprs: 29
; NumVgprs: 79
; ScratchSize: 0
; MemoryBound: 0
; FloatMode: 240
; IeeeMode: 1
; LDSByteSize: 0 bytes/workgroup (compile time only)
; SGPRBlocks: 3
; VGPRBlocks: 9
; NumSGPRsForWavesPerEU: 29
; NumVGPRsForWavesPerEU: 79
; Occupancy: 12
; WaveLimiterHint : 1
; COMPUTE_PGM_RSRC2:SCRATCH_EN: 0
; COMPUTE_PGM_RSRC2:USER_SGPR: 6
; COMPUTE_PGM_RSRC2:TRAP_HANDLER: 0
; COMPUTE_PGM_RSRC2:TGID_X_EN: 1
; COMPUTE_PGM_RSRC2:TGID_Y_EN: 0
; COMPUTE_PGM_RSRC2:TGID_Z_EN: 0
; COMPUTE_PGM_RSRC2:TIDIG_COMP_CNT: 0
	.text
	.p2alignl 6, 3214868480
	.fill 48, 4, 3214868480
	.type	__hip_cuid_7f683f2ec0ebe8b8,@object ; @__hip_cuid_7f683f2ec0ebe8b8
	.section	.bss,"aw",@nobits
	.globl	__hip_cuid_7f683f2ec0ebe8b8
__hip_cuid_7f683f2ec0ebe8b8:
	.byte	0                               ; 0x0
	.size	__hip_cuid_7f683f2ec0ebe8b8, 1

	.ident	"AMD clang version 19.0.0git (https://github.com/RadeonOpenCompute/llvm-project roc-6.4.0 25133 c7fe45cf4b819c5991fe208aaa96edf142730f1d)"
	.section	".note.GNU-stack","",@progbits
	.addrsig
	.addrsig_sym __hip_cuid_7f683f2ec0ebe8b8
	.amdgpu_metadata
---
amdhsa.kernels:
  - .args:
      - .actual_access:  read_only
        .address_space:  global
        .offset:         0
        .size:           8
        .value_kind:     global_buffer
      - .offset:         8
        .size:           8
        .value_kind:     by_value
      - .actual_access:  read_only
        .address_space:  global
        .offset:         16
        .size:           8
        .value_kind:     global_buffer
      - .actual_access:  read_only
        .address_space:  global
        .offset:         24
        .size:           8
        .value_kind:     global_buffer
      - .actual_access:  read_only
        .address_space:  global
        .offset:         32
        .size:           8
        .value_kind:     global_buffer
      - .offset:         40
        .size:           8
        .value_kind:     by_value
      - .actual_access:  read_only
        .address_space:  global
        .offset:         48
        .size:           8
        .value_kind:     global_buffer
      - .actual_access:  read_only
        .address_space:  global
        .offset:         56
        .size:           8
        .value_kind:     global_buffer
      - .offset:         64
        .size:           4
        .value_kind:     by_value
      - .actual_access:  read_only
        .address_space:  global
        .offset:         72
        .size:           8
        .value_kind:     global_buffer
      - .actual_access:  read_only
        .address_space:  global
        .offset:         80
        .size:           8
        .value_kind:     global_buffer
      - .actual_access:  read_only
        .address_space:  global
        .offset:         88
        .size:           8
        .value_kind:     global_buffer
      - .actual_access:  write_only
        .address_space:  global
        .offset:         96
        .size:           8
        .value_kind:     global_buffer
    .group_segment_fixed_size: 0
    .kernarg_segment_align: 8
    .kernarg_segment_size: 104
    .language:       OpenCL C
    .language_version:
      - 2
      - 0
    .max_flat_workgroup_size: 102
    .name:           fft_rtc_fwd_len1734_factors_17_17_6_wgs_102_tpt_102_halfLds_half_op_CI_CI_unitstride_sbrr_C2R_dirReg
    .private_segment_fixed_size: 0
    .sgpr_count:     29
    .sgpr_spill_count: 0
    .symbol:         fft_rtc_fwd_len1734_factors_17_17_6_wgs_102_tpt_102_halfLds_half_op_CI_CI_unitstride_sbrr_C2R_dirReg.kd
    .uniform_work_group_size: 1
    .uses_dynamic_stack: false
    .vgpr_count:     79
    .vgpr_spill_count: 0
    .wavefront_size: 32
    .workgroup_processor_mode: 1
amdhsa.target:   amdgcn-amd-amdhsa--gfx1030
amdhsa.version:
  - 1
  - 2
...

	.end_amdgpu_metadata
